;; amdgpu-corpus repo=ROCm/rocFFT kind=compiled arch=gfx1030 opt=O3
	.text
	.amdgcn_target "amdgcn-amd-amdhsa--gfx1030"
	.amdhsa_code_object_version 6
	.protected	bluestein_single_back_len1275_dim1_dp_op_CI_CI ; -- Begin function bluestein_single_back_len1275_dim1_dp_op_CI_CI
	.globl	bluestein_single_back_len1275_dim1_dp_op_CI_CI
	.p2align	8
	.type	bluestein_single_back_len1275_dim1_dp_op_CI_CI,@function
bluestein_single_back_len1275_dim1_dp_op_CI_CI: ; @bluestein_single_back_len1275_dim1_dp_op_CI_CI
; %bb.0:
	s_mov_b64 s[62:63], s[2:3]
	s_mov_b64 s[60:61], s[0:1]
	s_load_dwordx4 s[0:3], s[4:5], 0x28
	v_mul_u32_u24_e32 v1, 0x304, v0
	s_add_u32 s60, s60, s7
	s_addc_u32 s61, s61, 0
	v_lshrrev_b32_e32 v1, 16, v1
	v_mad_u64_u32 v[223:224], null, s6, 3, v[1:2]
	v_mov_b32_e32 v224, 0
                                        ; kill: def $vgpr2 killed $sgpr0 killed $exec
	s_waitcnt lgkmcnt(0)
	v_cmp_gt_u64_e32 vcc_lo, s[0:1], v[223:224]
	s_and_saveexec_b32 s0, vcc_lo
	s_cbranch_execz .LBB0_15
; %bb.1:
	v_mul_hi_u32 v2, 0xaaaaaaab, v223
	s_clause 0x1
	s_load_dwordx2 s[12:13], s[4:5], 0x0
	s_load_dwordx2 s[14:15], s[4:5], 0x38
	v_mul_lo_u16 v1, 0x55, v1
	v_sub_nc_u16 v0, v0, v1
	v_lshrrev_b32_e32 v2, 1, v2
	v_and_b32_e32 v248, 0xffff, v0
	v_lshl_add_u32 v2, v2, 1, v2
	v_cmp_gt_u16_e32 vcc_lo, 0x4b, v0
	v_lshlrev_b32_e32 v247, 4, v248
	v_sub_nc_u32_e32 v1, v223, v2
	v_mul_u32_u24_e32 v204, 0x4fb, v1
	v_lshlrev_b32_e32 v224, 4, v204
	s_and_saveexec_b32 s1, vcc_lo
	s_cbranch_execz .LBB0_3
; %bb.2:
	s_load_dwordx2 s[6:7], s[4:5], 0x18
	s_waitcnt lgkmcnt(0)
	v_add_co_u32 v8, s0, s12, v247
	v_add_co_ci_u32_e64 v9, null, s13, 0, s0
	v_add_co_u32 v14, s0, 0x800, v8
	v_add_co_ci_u32_e64 v15, s0, 0, v9, s0
	v_add_co_u32 v22, s0, 0x1000, v8
	v_add_co_ci_u32_e64 v23, s0, 0, v9, s0
	;; [unrolled: 2-line block ×3, first 2 shown]
	v_add_co_u32 v34, s0, 0x2000, v8
	s_load_dwordx4 s[8:11], s[6:7], 0x0
	v_add_co_ci_u32_e64 v35, s0, 0, v9, s0
	v_add_co_u32 v42, s0, 0x2800, v8
	v_add_co_ci_u32_e64 v43, s0, 0, v9, s0
	v_add_co_u32 v46, s0, 0x3000, v8
	;; [unrolled: 2-line block ×4, first 2 shown]
	v_add_co_ci_u32_e64 v127, s0, 0, v9, s0
	s_clause 0x1
	global_load_dwordx4 v[0:3], v247, s[12:13]
	global_load_dwordx4 v[4:7], v247, s[12:13] offset:1200
	s_waitcnt lgkmcnt(0)
	v_mad_u64_u32 v[18:19], null, s10, v223, 0
	v_mad_u64_u32 v[28:29], null, s8, v248, 0
	s_mul_i32 s6, s9, 0x4b0
	s_mul_hi_u32 s7, s8, 0x4b0
	s_add_i32 s7, s7, s6
	v_mov_b32_e32 v10, v19
	v_mad_u64_u32 v[10:11], null, s11, v223, v[10:11]
	v_mov_b32_e32 v11, v29
	v_mad_u64_u32 v[20:21], null, s9, v248, v[11:12]
	v_mov_b32_e32 v19, v10
	s_clause 0x1
	global_load_dwordx4 v[10:13], v[14:15], off offset:352
	global_load_dwordx4 v[14:17], v[14:15], off offset:1552
	v_lshlrev_b64 v[30:31], 4, v[18:19]
	v_mov_b32_e32 v29, v20
	s_clause 0x1
	global_load_dwordx4 v[18:21], v[22:23], off offset:704
	global_load_dwordx4 v[22:25], v[22:23], off offset:1904
	v_lshlrev_b64 v[28:29], 4, v[28:29]
	v_add_co_u32 v30, s0, s2, v30
	v_add_co_ci_u32_e64 v31, s0, s3, v31, s0
	s_mul_i32 s2, s8, 0x4b0
	v_add_co_u32 v58, s0, v30, v28
	v_add_co_ci_u32_e64 v59, s0, v31, v29, s0
	global_load_dwordx4 v[26:29], v[26:27], off offset:1056
	v_add_co_u32 v62, s0, v58, s2
	v_add_co_ci_u32_e64 v63, s0, s7, v59, s0
	s_clause 0x1
	global_load_dwordx4 v[30:33], v[34:35], off offset:208
	global_load_dwordx4 v[34:37], v[34:35], off offset:1408
	v_add_co_u32 v66, s0, v62, s2
	v_add_co_ci_u32_e64 v67, s0, s7, v63, s0
	s_clause 0x1
	global_load_dwordx4 v[38:41], v[42:43], off offset:560
	global_load_dwordx4 v[42:45], v[42:43], off offset:1760
	v_add_co_u32 v70, s0, v66, s2
	v_add_co_ci_u32_e64 v71, s0, s7, v67, s0
	global_load_dwordx4 v[46:49], v[46:47], off offset:912
	v_add_co_u32 v74, s0, v70, s2
	v_add_co_ci_u32_e64 v75, s0, s7, v71, s0
	s_clause 0x1
	global_load_dwordx4 v[50:53], v[54:55], off offset:64
	global_load_dwordx4 v[54:57], v[54:55], off offset:1264
	v_add_co_u32 v78, s0, v74, s2
	v_add_co_ci_u32_e64 v79, s0, s7, v75, s0
	s_clause 0x1
	global_load_dwordx4 v[58:61], v[58:59], off
	global_load_dwordx4 v[62:65], v[62:63], off
	v_add_co_u32 v82, s0, v78, s2
	v_add_co_ci_u32_e64 v83, s0, s7, v79, s0
	global_load_dwordx4 v[66:69], v[66:67], off
	v_add_co_u32 v86, s0, v82, s2
	v_add_co_ci_u32_e64 v87, s0, s7, v83, s0
	s_clause 0x1
	global_load_dwordx4 v[70:73], v[70:71], off
	global_load_dwordx4 v[74:77], v[74:75], off
	v_add_co_u32 v90, s0, v86, s2
	v_add_co_ci_u32_e64 v91, s0, s7, v87, s0
	global_load_dwordx4 v[78:81], v[78:79], off
	v_add_co_u32 v94, s0, v90, s2
	v_add_co_ci_u32_e64 v95, s0, s7, v91, s0
	;; [unrolled: 3-line block ×6, first 2 shown]
	v_add_co_u32 v118, s0, v110, s2
	v_add_co_ci_u32_e64 v119, s0, s7, v111, s0
	global_load_dwordx4 v[98:101], v[98:99], off
	global_load_dwordx4 v[102:105], v[102:103], off
	;; [unrolled: 1-line block ×5, first 2 shown]
	v_add_co_u32 v122, s0, v118, s2
	v_add_co_ci_u32_e64 v123, s0, s7, v119, s0
	v_add_co_u32 v8, s0, 0x4800, v8
	v_add_co_ci_u32_e64 v9, s0, 0, v9, s0
	v_add_co_u32 v134, s0, v122, s2
	v_add_co_ci_u32_e64 v135, s0, s7, v123, s0
	global_load_dwordx4 v[118:121], v[126:127], off offset:416
	global_load_dwordx4 v[122:125], v[122:123], off
	s_clause 0x1
	global_load_dwordx4 v[126:129], v[126:127], off offset:1616
	global_load_dwordx4 v[130:133], v[8:9], off offset:768
	global_load_dwordx4 v[134:137], v[134:135], off
	s_waitcnt vmcnt(19)
	v_mul_f64 v[8:9], v[60:61], v[2:3]
	v_mul_f64 v[2:3], v[58:59], v[2:3]
	s_waitcnt vmcnt(18)
	v_mul_f64 v[138:139], v[64:65], v[6:7]
	v_mul_f64 v[140:141], v[62:63], v[6:7]
	;; [unrolled: 3-line block ×6, first 2 shown]
	v_fma_f64 v[6:7], v[58:59], v[0:1], v[8:9]
	v_fma_f64 v[8:9], v[60:61], v[0:1], -v[2:3]
	v_fma_f64 v[0:1], v[62:63], v[4:5], v[138:139]
	v_fma_f64 v[2:3], v[64:65], v[4:5], -v[140:141]
	s_waitcnt vmcnt(13)
	v_mul_f64 v[4:5], v[84:85], v[28:29]
	v_mul_f64 v[28:29], v[82:83], v[28:29]
	s_waitcnt vmcnt(12)
	v_mul_f64 v[62:63], v[88:89], v[32:33]
	v_mul_f64 v[32:33], v[86:87], v[32:33]
	v_fma_f64 v[58:59], v[66:67], v[10:11], v[142:143]
	s_waitcnt vmcnt(11)
	v_mul_f64 v[64:65], v[92:93], v[36:37]
	v_mul_f64 v[36:37], v[90:91], v[36:37]
	v_fma_f64 v[60:61], v[68:69], v[10:11], -v[12:13]
	v_fma_f64 v[10:11], v[70:71], v[14:15], v[144:145]
	v_fma_f64 v[12:13], v[72:73], v[14:15], -v[16:17]
	s_waitcnt vmcnt(10)
	v_mul_f64 v[66:67], v[96:97], v[40:41]
	v_mul_f64 v[40:41], v[94:95], v[40:41]
	v_fma_f64 v[14:15], v[74:75], v[18:19], v[146:147]
	v_fma_f64 v[16:17], v[76:77], v[18:19], -v[20:21]
	v_fma_f64 v[18:19], v[78:79], v[22:23], v[148:149]
	v_fma_f64 v[20:21], v[80:81], v[22:23], -v[24:25]
	s_waitcnt vmcnt(9)
	v_mul_f64 v[68:69], v[100:101], v[44:45]
	v_mul_f64 v[44:45], v[98:99], v[44:45]
	s_waitcnt vmcnt(8)
	v_mul_f64 v[70:71], v[104:105], v[48:49]
	v_mul_f64 v[48:49], v[102:103], v[48:49]
	s_waitcnt vmcnt(7)
	v_mul_f64 v[72:73], v[108:109], v[52:53]
	v_mul_f64 v[52:53], v[106:107], v[52:53]
	s_waitcnt vmcnt(6)
	v_mul_f64 v[74:75], v[112:113], v[56:57]
	v_mul_f64 v[56:57], v[110:111], v[56:57]
	v_fma_f64 v[22:23], v[82:83], v[26:27], v[4:5]
	v_fma_f64 v[24:25], v[84:85], v[26:27], -v[28:29]
	v_fma_f64 v[26:27], v[86:87], v[30:31], v[62:63]
	v_fma_f64 v[28:29], v[88:89], v[30:31], -v[32:33]
	v_fma_f64 v[30:31], v[90:91], v[34:35], v[64:65]
	s_waitcnt vmcnt(4)
	v_mul_f64 v[76:77], v[116:117], v[120:121]
	v_mul_f64 v[78:79], v[114:115], v[120:121]
	s_waitcnt vmcnt(2)
	v_mul_f64 v[80:81], v[124:125], v[128:129]
	v_mul_f64 v[120:121], v[122:123], v[128:129]
	;; [unrolled: 3-line block ×3, first 2 shown]
	v_fma_f64 v[32:33], v[92:93], v[34:35], -v[36:37]
	v_fma_f64 v[34:35], v[94:95], v[38:39], v[66:67]
	v_fma_f64 v[36:37], v[96:97], v[38:39], -v[40:41]
	v_fma_f64 v[38:39], v[98:99], v[42:43], v[68:69]
	;; [unrolled: 2-line block ×5, first 2 shown]
	v_fma_f64 v[52:53], v[112:113], v[54:55], -v[56:57]
	v_lshl_add_u32 v4, v248, 4, v224
	v_add_nc_u32_e32 v5, v224, v247
	v_fma_f64 v[54:55], v[114:115], v[118:119], v[76:77]
	v_fma_f64 v[56:57], v[116:117], v[118:119], -v[78:79]
	v_fma_f64 v[62:63], v[122:123], v[126:127], v[80:81]
	v_fma_f64 v[64:65], v[124:125], v[126:127], -v[120:121]
	;; [unrolled: 2-line block ×3, first 2 shown]
	ds_write_b128 v4, v[6:9]
	ds_write_b128 v5, v[0:3] offset:1200
	ds_write_b128 v5, v[58:61] offset:2400
	;; [unrolled: 1-line block ×16, first 2 shown]
.LBB0_3:
	s_or_b32 exec_lo, exec_lo, s1
	s_clause 0x1
	s_load_dwordx2 s[0:1], s[4:5], 0x20
	s_load_dwordx2 s[2:3], s[4:5], 0x8
	s_waitcnt lgkmcnt(0)
	s_barrier
	buffer_gl0_inv
                                        ; implicit-def: $vgpr8_vgpr9
                                        ; implicit-def: $vgpr72_vgpr73
                                        ; implicit-def: $vgpr68_vgpr69
                                        ; implicit-def: $vgpr64_vgpr65
                                        ; implicit-def: $vgpr60_vgpr61
                                        ; implicit-def: $vgpr56_vgpr57
                                        ; implicit-def: $vgpr52_vgpr53
                                        ; implicit-def: $vgpr48_vgpr49
                                        ; implicit-def: $vgpr44_vgpr45
                                        ; implicit-def: $vgpr40_vgpr41
                                        ; implicit-def: $vgpr36_vgpr37
                                        ; implicit-def: $vgpr32_vgpr33
                                        ; implicit-def: $vgpr28_vgpr29
                                        ; implicit-def: $vgpr24_vgpr25
                                        ; implicit-def: $vgpr20_vgpr21
                                        ; implicit-def: $vgpr16_vgpr17
                                        ; implicit-def: $vgpr12_vgpr13
	s_and_saveexec_b32 s4, vcc_lo
	s_cbranch_execz .LBB0_5
; %bb.4:
	v_lshl_add_u32 v0, v204, 4, v247
	ds_read_b128 v[8:11], v0
	ds_read_b128 v[72:75], v0 offset:1200
	ds_read_b128 v[68:71], v0 offset:2400
	ds_read_b128 v[64:67], v0 offset:3600
	ds_read_b128 v[60:63], v0 offset:4800
	ds_read_b128 v[56:59], v0 offset:6000
	ds_read_b128 v[52:55], v0 offset:7200
	ds_read_b128 v[48:51], v0 offset:8400
	ds_read_b128 v[44:47], v0 offset:9600
	ds_read_b128 v[40:43], v0 offset:10800
	ds_read_b128 v[36:39], v0 offset:12000
	ds_read_b128 v[32:35], v0 offset:13200
	ds_read_b128 v[28:31], v0 offset:14400
	ds_read_b128 v[24:27], v0 offset:15600
	ds_read_b128 v[20:23], v0 offset:16800
	ds_read_b128 v[16:19], v0 offset:18000
	ds_read_b128 v[12:15], v0 offset:19200
.LBB0_5:
	s_or_b32 exec_lo, exec_lo, s4
	s_waitcnt lgkmcnt(0)
	v_add_f64 v[178:179], v[74:75], -v[14:15]
	v_add_f64 v[186:187], v[72:73], -v[12:13]
	s_mov_b32 s8, 0x5d8e7cdc
	s_mov_b32 s4, 0x2a9d6da3
	;; [unrolled: 1-line block ×4, first 2 shown]
	v_add_f64 v[176:177], v[72:73], v[12:13]
	v_add_f64 v[182:183], v[74:75], v[14:15]
	v_add_f64 v[90:91], v[70:71], -v[18:19]
	v_add_f64 v[76:77], v[68:69], -v[16:17]
	s_mov_b32 s10, 0x370991
	s_mov_b32 s6, 0x75d4884
	;; [unrolled: 1-line block ×6, first 2 shown]
	v_add_f64 v[78:79], v[68:69], v[16:17]
	v_add_f64 v[94:95], v[70:71], v[18:19]
	v_add_f64 v[98:99], v[66:67], -v[22:23]
	v_add_f64 v[80:81], v[64:65], -v[20:21]
	s_mov_b32 s16, 0x3259b75e
	s_mov_b32 s18, 0x7c9e640b
	v_mul_f64 v[188:189], v[178:179], s[8:9]
	v_mul_f64 v[194:195], v[186:187], s[8:9]
	;; [unrolled: 1-line block ×4, first 2 shown]
	s_mov_b32 s20, 0x6c9a05f6
	s_mov_b32 s17, 0x3fb79ee6
	;; [unrolled: 1-line block ×4, first 2 shown]
	v_mul_f64 v[144:145], v[90:91], s[4:5]
	v_mul_f64 v[146:147], v[76:77], s[4:5]
	;; [unrolled: 1-line block ×4, first 2 shown]
	v_add_f64 v[82:83], v[64:65], v[20:21]
	v_add_f64 v[104:105], v[66:67], v[22:23]
	v_add_f64 v[84:85], v[60:61], -v[24:25]
	v_add_f64 v[114:115], v[62:63], -v[26:27]
	s_mov_b32 s24, 0x2b2883cd
	s_mov_b32 s22, 0x6ed5f1bb
	v_mul_f64 v[152:153], v[98:99], s[18:19]
	v_mul_f64 v[154:155], v[80:81], s[18:19]
	;; [unrolled: 1-line block ×4, first 2 shown]
	v_fma_f64 v[0:1], v[176:177], s[10:11], v[188:189]
	v_fma_f64 v[2:3], v[182:183], s[10:11], -v[194:195]
	v_fma_f64 v[4:5], v[176:177], s[6:7], v[198:199]
	v_fma_f64 v[6:7], v[182:183], s[6:7], -v[202:203]
	s_mov_b32 s26, 0xacd6c6b4
	s_mov_b32 s25, 0x3fdc86fa
	;; [unrolled: 1-line block ×4, first 2 shown]
	v_fma_f64 v[92:93], v[78:79], s[6:7], v[144:145]
	v_fma_f64 v[96:97], v[94:95], s[6:7], -v[146:147]
	v_fma_f64 v[100:101], v[78:79], s[16:17], v[128:129]
	v_fma_f64 v[102:103], v[94:95], s[16:17], -v[138:139]
	v_add_f64 v[86:87], v[60:61], v[24:25]
	v_add_f64 v[118:119], v[62:63], v[26:27]
	v_add_f64 v[88:89], v[56:57], -v[28:29]
	v_add_f64 v[122:123], v[58:59], -v[30:31]
	v_mul_f64 v[160:161], v[114:115], s[28:29]
	v_mul_f64 v[162:163], v[84:85], s[28:29]
	;; [unrolled: 1-line block ×4, first 2 shown]
	v_fma_f64 v[106:107], v[82:83], s[24:25], v[152:153]
	v_fma_f64 v[108:109], v[104:105], s[24:25], -v[154:155]
	v_add_f64 v[0:1], v[8:9], v[0:1]
	v_add_f64 v[2:3], v[10:11], v[2:3]
	;; [unrolled: 1-line block ×4, first 2 shown]
	v_fma_f64 v[110:111], v[82:83], s[22:23], v[134:135]
	v_fma_f64 v[112:113], v[104:105], s[22:23], -v[136:137]
	s_mov_b32 s34, 0x7faef3
	s_mov_b32 s38, 0x923c349f
	;; [unrolled: 1-line block ×6, first 2 shown]
	v_add_f64 v[124:125], v[58:59], v[30:31]
	v_add_f64 v[126:127], v[54:55], -v[34:35]
	v_mul_f64 v[174:175], v[88:89], s[38:39]
	v_mul_f64 v[172:173], v[122:123], s[38:39]
	;; [unrolled: 1-line block ×4, first 2 shown]
	v_fma_f64 v[116:117], v[86:87], s[16:17], v[160:161]
	v_fma_f64 v[120:121], v[118:119], s[16:17], -v[162:163]
	v_fma_f64 v[132:133], v[86:87], s[34:35], v[140:141]
	v_fma_f64 v[164:165], v[118:119], s[34:35], -v[142:143]
	v_add_f64 v[0:1], v[92:93], v[0:1]
	v_add_f64 v[2:3], v[96:97], v[2:3]
	;; [unrolled: 1-line block ×5, first 2 shown]
	v_add_f64 v[96:97], v[52:53], -v[32:33]
	s_mov_b32 s44, 0xc61f0d01
	s_mov_b32 s36, 0x910ea3b9
	;; [unrolled: 1-line block ×6, first 2 shown]
	v_add_f64 v[100:101], v[52:53], v[32:33]
	v_add_f64 v[130:131], v[54:55], v[34:35]
	v_add_f64 v[102:103], v[48:49], -v[36:37]
	v_mul_f64 v[180:181], v[126:127], s[20:21]
	v_mul_f64 v[156:157], v[126:127], s[48:49]
	v_fma_f64 v[168:169], v[124:125], s[44:45], -v[174:175]
	v_fma_f64 v[196:197], v[124:125], s[36:37], -v[150:151]
	s_mov_b32 s43, 0xbfe0d888
	s_mov_b32 s41, 0x3feca52d
	;; [unrolled: 1-line block ×3, first 2 shown]
	v_add_f64 v[0:1], v[106:107], v[0:1]
	v_add_f64 v[2:3], v[108:109], v[2:3]
	;; [unrolled: 1-line block ×4, first 2 shown]
	v_add_f64 v[110:111], v[50:51], -v[38:39]
	v_mul_f64 v[184:185], v[96:97], s[20:21]
	v_mul_f64 v[158:159], v[96:97], s[48:49]
	v_fma_f64 v[112:113], v[92:93], s[44:45], v[172:173]
	v_fma_f64 v[170:171], v[92:93], s[36:37], v[148:149]
	s_mov_b32 s40, s18
	v_add_f64 v[106:107], v[48:49], v[36:37]
	v_add_f64 v[108:109], v[44:45], -v[40:41]
	s_mov_b32 s47, 0x3fd71e95
	s_mov_b32 s46, s8
	v_mul_f64 v[192:193], v[102:103], s[42:43]
	v_mul_f64 v[166:167], v[102:103], s[40:41]
	v_fma_f64 v[205:206], v[100:101], s[22:23], v[180:181]
	v_fma_f64 v[209:210], v[100:101], s[44:45], v[156:157]
	s_barrier
	buffer_gl0_inv
	v_add_f64 v[0:1], v[116:117], v[0:1]
	v_add_f64 v[2:3], v[120:121], v[2:3]
	;; [unrolled: 1-line block ×5, first 2 shown]
	v_add_f64 v[116:117], v[46:47], -v[42:43]
	v_mul_f64 v[190:191], v[110:111], s[42:43]
	v_mul_f64 v[164:165], v[110:111], s[40:41]
	v_fma_f64 v[207:208], v[130:131], s[22:23], -v[184:185]
	v_fma_f64 v[211:212], v[130:131], s[44:45], -v[158:159]
	v_add_f64 v[120:121], v[46:47], v[42:43]
	v_mul_f64 v[200:201], v[108:109], s[26:27]
	v_add_f64 v[0:1], v[112:113], v[0:1]
	v_add_f64 v[2:3], v[168:169], v[2:3]
	v_add_f64 v[4:5], v[170:171], v[4:5]
	v_add_f64 v[6:7], v[196:197], v[6:7]
	v_add_f64 v[112:113], v[44:45], v[40:41]
	v_mul_f64 v[196:197], v[116:117], s[26:27]
	v_mul_f64 v[168:169], v[116:117], s[46:47]
	;; [unrolled: 1-line block ×3, first 2 shown]
	v_fma_f64 v[213:214], v[106:107], s[36:37], v[190:191]
	v_fma_f64 v[215:216], v[132:133], s[36:37], -v[192:193]
	v_fma_f64 v[217:218], v[106:107], s[24:25], v[164:165]
	v_fma_f64 v[221:222], v[132:133], s[24:25], -v[166:167]
	v_add_f64 v[0:1], v[205:206], v[0:1]
	v_add_f64 v[2:3], v[207:208], v[2:3]
	;; [unrolled: 1-line block ×4, first 2 shown]
	v_fma_f64 v[207:208], v[120:121], s[34:35], -v[200:201]
	v_fma_f64 v[205:206], v[112:113], s[34:35], v[196:197]
	v_fma_f64 v[209:210], v[112:113], s[10:11], v[168:169]
	v_fma_f64 v[211:212], v[120:121], s[10:11], -v[170:171]
	v_add_f64 v[0:1], v[213:214], v[0:1]
	v_add_f64 v[2:3], v[215:216], v[2:3]
	;; [unrolled: 1-line block ×8, first 2 shown]
	s_and_saveexec_b32 s33, vcc_lo
	s_cbranch_execz .LBB0_7
; %bb.6:
	v_add_f64 v[0:1], v[10:11], v[74:75]
	v_add_f64 v[2:3], v[8:9], v[72:73]
	s_mov_b32 s51, 0x3fe9895b
	s_mov_b32 s50, s20
	s_mov_b32 s55, 0x3fc7851a
	s_mov_b32 s54, s26
	v_mul_f64 v[4:5], v[182:183], s[36:37]
	s_mov_b32 s53, 0x3fefdd0d
	s_mov_b32 s52, s28
	s_mov_b32 s57, 0x3fe58eea
	s_mov_b32 s56, s4
	v_add_f64 v[0:1], v[0:1], v[70:71]
	v_add_f64 v[2:3], v[2:3], v[68:69]
	v_fma_f64 v[6:7], v[186:187], s[30:31], v[4:5]
	v_fma_f64 v[4:5], v[186:187], s[42:43], v[4:5]
	v_add_f64 v[0:1], v[0:1], v[66:67]
	v_add_f64 v[2:3], v[2:3], v[64:65]
	;; [unrolled: 1-line block ×6, first 2 shown]
	v_mul_f64 v[62:63], v[176:177], s[10:11]
	v_add_f64 v[0:1], v[0:1], v[58:59]
	v_add_f64 v[2:3], v[2:3], v[56:57]
	v_add_f64 v[62:63], v[62:63], -v[188:189]
	v_mul_f64 v[188:189], v[110:111], s[38:39]
	v_add_f64 v[0:1], v[0:1], v[54:55]
	v_add_f64 v[2:3], v[2:3], v[52:53]
	;; [unrolled: 1-line block ×4, first 2 shown]
	v_mul_f64 v[48:49], v[178:179], s[18:19]
	v_add_f64 v[0:1], v[0:1], v[46:47]
	v_add_f64 v[2:3], v[2:3], v[44:45]
	v_mul_f64 v[44:45], v[178:179], s[38:39]
	v_mul_f64 v[46:47], v[178:179], s[28:29]
	v_fma_f64 v[60:61], v[176:177], s[24:25], v[48:49]
	v_fma_f64 v[48:49], v[176:177], s[24:25], -v[48:49]
	v_add_f64 v[0:1], v[0:1], v[42:43]
	v_add_f64 v[2:3], v[2:3], v[40:41]
	v_fma_f64 v[56:57], v[176:177], s[44:45], v[44:45]
	v_fma_f64 v[44:45], v[176:177], s[44:45], -v[44:45]
	v_fma_f64 v[58:59], v[176:177], s[16:17], v[46:47]
	v_fma_f64 v[46:47], v[176:177], s[16:17], -v[46:47]
	v_add_f64 v[48:49], v[8:9], v[48:49]
	v_add_f64 v[0:1], v[0:1], v[38:39]
	;; [unrolled: 1-line block ×8, first 2 shown]
	v_mul_f64 v[32:33], v[178:179], s[42:43]
	v_mul_f64 v[34:35], v[178:179], s[20:21]
	v_add_f64 v[0:1], v[0:1], v[30:31]
	v_add_f64 v[2:3], v[2:3], v[28:29]
	v_mul_f64 v[28:29], v[182:183], s[24:25]
	v_fma_f64 v[52:53], v[176:177], s[36:37], v[32:33]
	v_fma_f64 v[32:33], v[176:177], s[36:37], -v[32:33]
	v_fma_f64 v[54:55], v[176:177], s[22:23], v[34:35]
	v_fma_f64 v[34:35], v[176:177], s[22:23], -v[34:35]
	v_add_f64 v[0:1], v[0:1], v[26:27]
	v_add_f64 v[2:3], v[2:3], v[24:25]
	v_fma_f64 v[30:31], v[186:187], s[40:41], v[28:29]
	v_fma_f64 v[36:37], v[186:187], s[18:19], v[28:29]
	v_mul_f64 v[28:29], v[182:183], s[6:7]
	v_mul_f64 v[24:25], v[182:183], s[16:17]
	v_add_f64 v[52:53], v[8:9], v[52:53]
	v_add_f64 v[66:67], v[8:9], v[32:33]
	v_add_f64 v[54:55], v[8:9], v[54:55]
	v_add_f64 v[72:73], v[8:9], v[34:35]
	v_add_f64 v[32:33], v[8:9], v[58:59]
	v_add_f64 v[0:1], v[0:1], v[22:23]
	v_add_f64 v[2:3], v[2:3], v[20:21]
	v_mul_f64 v[20:21], v[182:183], s[44:45]
	v_add_f64 v[36:37], v[10:11], v[36:37]
	v_add_f64 v[38:39], v[202:203], v[28:29]
	v_mul_f64 v[28:29], v[176:177], s[6:7]
	v_fma_f64 v[26:27], v[186:187], s[52:53], v[24:25]
	v_fma_f64 v[24:25], v[186:187], s[28:29], v[24:25]
	v_add_f64 v[0:1], v[0:1], v[18:19]
	v_add_f64 v[2:3], v[2:3], v[16:17]
	v_mul_f64 v[16:17], v[182:183], s[22:23]
	v_fma_f64 v[22:23], v[186:187], s[48:49], v[20:21]
	v_fma_f64 v[20:21], v[186:187], s[38:39], v[20:21]
	v_add_f64 v[40:41], v[28:29], -v[198:199]
	v_mul_f64 v[28:29], v[182:183], s[10:11]
	v_add_f64 v[34:35], v[10:11], v[26:27]
	v_add_f64 v[58:59], v[10:11], v[24:25]
	;; [unrolled: 1-line block ×3, first 2 shown]
	v_mul_f64 v[24:25], v[118:119], s[6:7]
	v_mul_f64 v[26:27], v[114:115], s[56:57]
	v_add_f64 v[14:15], v[0:1], v[14:15]
	v_mul_f64 v[0:1], v[182:183], s[34:35]
	v_fma_f64 v[18:19], v[186:187], s[50:51], v[16:17]
	v_fma_f64 v[16:17], v[186:187], s[20:21], v[16:17]
	v_add_f64 v[12:13], v[2:3], v[12:13]
	v_add_f64 v[40:41], v[8:9], v[40:41]
	;; [unrolled: 1-line block ×3, first 2 shown]
	v_mul_f64 v[28:29], v[178:179], s[26:27]
	v_add_f64 v[74:75], v[10:11], v[22:23]
	v_mul_f64 v[22:23], v[98:99], s[42:43]
	v_mul_f64 v[178:179], v[130:131], s[24:25]
	;; [unrolled: 1-line block ×4, first 2 shown]
	v_fma_f64 v[2:3], v[186:187], s[54:55], v[0:1]
	v_fma_f64 v[0:1], v[186:187], s[26:27], v[0:1]
	v_add_f64 v[70:71], v[10:11], v[16:17]
	v_mul_f64 v[16:17], v[94:95], s[10:11]
	v_add_f64 v[68:69], v[10:11], v[18:19]
	v_mul_f64 v[18:19], v[90:91], s[46:47]
	v_fma_f64 v[50:51], v[176:177], s[34:35], v[28:29]
	v_fma_f64 v[28:29], v[176:177], s[34:35], -v[28:29]
	v_add_f64 v[176:177], v[10:11], v[20:21]
	v_mul_f64 v[20:21], v[104:105], s[36:37]
	v_add_f64 v[42:43], v[10:11], v[42:43]
	v_mul_f64 v[186:187], v[132:133], s[44:45]
	v_add_f64 v[2:3], v[10:11], v[2:3]
	v_add_f64 v[0:1], v[10:11], v[0:1]
	;; [unrolled: 1-line block ×7, first 2 shown]
	v_fma_f64 v[8:9], v[76:77], s[8:9], v[16:17]
	v_fma_f64 v[10:11], v[80:81], s[30:31], v[20:21]
	;; [unrolled: 1-line block ×3, first 2 shown]
	v_mul_f64 v[62:63], v[122:123], s[20:21]
	v_add_f64 v[2:3], v[8:9], v[2:3]
	v_fma_f64 v[8:9], v[78:79], s[10:11], v[18:19]
	v_add_f64 v[0:1], v[16:17], v[0:1]
	v_fma_f64 v[16:17], v[78:79], s[10:11], -v[18:19]
	v_fma_f64 v[18:19], v[80:81], s[42:43], v[20:21]
	v_add_f64 v[2:3], v[10:11], v[2:3]
	v_add_f64 v[8:9], v[8:9], v[50:51]
	v_fma_f64 v[10:11], v[82:83], s[36:37], v[22:23]
	v_add_f64 v[16:17], v[16:17], v[64:65]
	v_add_f64 v[0:1], v[18:19], v[0:1]
	v_fma_f64 v[18:19], v[82:83], s[36:37], -v[22:23]
	v_mul_f64 v[50:51], v[124:125], s[22:23]
	v_mul_f64 v[64:65], v[122:123], s[8:9]
	v_add_f64 v[8:9], v[10:11], v[8:9]
	v_fma_f64 v[10:11], v[84:85], s[4:5], v[24:25]
	v_add_f64 v[16:17], v[18:19], v[16:17]
	v_fma_f64 v[18:19], v[84:85], s[56:57], v[24:25]
	v_mul_f64 v[24:25], v[104:105], s[16:17]
	v_add_f64 v[2:3], v[10:11], v[2:3]
	v_fma_f64 v[10:11], v[86:87], s[6:7], v[26:27]
	v_add_f64 v[0:1], v[18:19], v[0:1]
	v_fma_f64 v[18:19], v[86:87], s[6:7], -v[26:27]
	v_fma_f64 v[22:23], v[80:81], s[52:53], v[24:25]
	v_mul_f64 v[26:27], v[98:99], s[28:29]
	v_add_f64 v[8:9], v[10:11], v[8:9]
	v_fma_f64 v[10:11], v[88:89], s[50:51], v[50:51]
	v_add_f64 v[16:17], v[18:19], v[16:17]
	v_fma_f64 v[18:19], v[88:89], s[20:21], v[50:51]
	v_mul_f64 v[50:51], v[118:119], s[22:23]
	v_add_f64 v[2:3], v[10:11], v[2:3]
	v_fma_f64 v[10:11], v[92:93], s[22:23], v[62:63]
	v_add_f64 v[0:1], v[18:19], v[0:1]
	v_fma_f64 v[18:19], v[92:93], s[22:23], -v[62:63]
	v_mul_f64 v[62:63], v[124:125], s[10:11]
	v_add_f64 v[8:9], v[10:11], v[8:9]
	v_fma_f64 v[10:11], v[96:97], s[18:19], v[178:179]
	v_add_f64 v[16:17], v[18:19], v[16:17]
	v_fma_f64 v[18:19], v[96:97], s[40:41], v[178:179]
	v_mul_f64 v[178:179], v[130:131], s[34:35]
	v_add_f64 v[2:3], v[10:11], v[2:3]
	v_fma_f64 v[10:11], v[100:101], s[24:25], v[182:183]
	v_add_f64 v[0:1], v[18:19], v[0:1]
	v_fma_f64 v[18:19], v[100:101], s[24:25], -v[182:183]
	;; [unrolled: 10-line block ×3, first 2 shown]
	v_mul_f64 v[188:189], v[110:111], s[56:57]
	v_add_f64 v[8:9], v[10:11], v[8:9]
	v_fma_f64 v[10:11], v[108:109], s[28:29], v[194:195]
	v_add_f64 v[16:17], v[18:19], v[16:17]
	v_fma_f64 v[18:19], v[108:109], s[52:53], v[194:195]
	v_mul_f64 v[194:195], v[120:121], s[44:45]
	v_add_f64 v[10:11], v[10:11], v[2:3]
	v_mul_f64 v[2:3], v[116:117], s[52:53]
	v_add_f64 v[18:19], v[18:19], v[0:1]
	v_mul_f64 v[0:1], v[94:95], s[24:25]
	v_fma_f64 v[198:199], v[112:113], s[16:17], v[2:3]
	v_fma_f64 v[2:3], v[112:113], s[16:17], -v[2:3]
	v_add_f64 v[8:9], v[198:199], v[8:9]
	v_add_f64 v[16:17], v[2:3], v[16:17]
	v_fma_f64 v[2:3], v[76:77], s[18:19], v[0:1]
	v_fma_f64 v[0:1], v[76:77], s[40:41], v[0:1]
	v_add_f64 v[2:3], v[2:3], v[6:7]
	v_mul_f64 v[6:7], v[90:91], s[40:41]
	v_add_f64 v[0:1], v[0:1], v[4:5]
	v_add_f64 v[2:3], v[22:23], v[2:3]
	v_fma_f64 v[20:21], v[78:79], s[24:25], v[6:7]
	v_fma_f64 v[22:23], v[82:83], s[16:17], v[26:27]
	v_fma_f64 v[4:5], v[78:79], s[24:25], -v[6:7]
	v_fma_f64 v[6:7], v[80:81], s[28:29], v[24:25]
	v_add_f64 v[20:21], v[20:21], v[52:53]
	v_mul_f64 v[52:53], v[114:115], s[50:51]
	v_add_f64 v[4:5], v[4:5], v[66:67]
	v_add_f64 v[0:1], v[6:7], v[0:1]
	v_fma_f64 v[6:7], v[82:83], s[16:17], -v[26:27]
	v_mul_f64 v[66:67], v[130:131], s[22:23]
	v_add_f64 v[20:21], v[22:23], v[20:21]
	v_fma_f64 v[22:23], v[84:85], s[20:21], v[50:51]
	v_add_f64 v[4:5], v[6:7], v[4:5]
	v_fma_f64 v[6:7], v[84:85], s[50:51], v[50:51]
	v_mul_f64 v[50:51], v[118:119], s[16:17]
	v_add_f64 v[66:67], v[184:185], v[66:67]
	v_add_f64 v[2:3], v[22:23], v[2:3]
	v_fma_f64 v[22:23], v[86:87], s[22:23], v[52:53]
	v_add_f64 v[0:1], v[6:7], v[0:1]
	v_fma_f64 v[6:7], v[86:87], s[22:23], -v[52:53]
	v_add_f64 v[50:51], v[162:163], v[50:51]
	v_mul_f64 v[162:163], v[94:95], s[16:17]
	v_mul_f64 v[52:53], v[86:87], s[16:17]
	v_add_f64 v[20:21], v[22:23], v[20:21]
	v_fma_f64 v[22:23], v[88:89], s[46:47], v[62:63]
	v_add_f64 v[4:5], v[6:7], v[4:5]
	v_fma_f64 v[6:7], v[88:89], s[8:9], v[62:63]
	v_mul_f64 v[62:63], v[124:125], s[44:45]
	v_add_f64 v[138:139], v[138:139], v[162:163]
	v_add_f64 v[52:53], v[52:53], -v[160:161]
	v_mul_f64 v[162:163], v[94:95], s[44:45]
	v_mul_f64 v[160:161], v[112:113], s[34:35]
	v_add_f64 v[2:3], v[22:23], v[2:3]
	v_fma_f64 v[22:23], v[92:93], s[10:11], v[64:65]
	v_add_f64 v[0:1], v[6:7], v[0:1]
	v_fma_f64 v[6:7], v[92:93], s[10:11], -v[64:65]
	v_add_f64 v[62:63], v[174:175], v[62:63]
	v_add_f64 v[38:39], v[138:139], v[38:39]
	v_mul_f64 v[138:139], v[82:83], s[22:23]
	v_mul_f64 v[64:65], v[92:93], s[44:45]
	v_add_f64 v[160:161], v[160:161], -v[196:197]
	v_add_f64 v[20:21], v[22:23], v[20:21]
	v_fma_f64 v[22:23], v[96:97], s[54:55], v[178:179]
	v_add_f64 v[4:5], v[6:7], v[4:5]
	v_fma_f64 v[6:7], v[96:97], s[26:27], v[178:179]
	v_add_f64 v[134:135], v[138:139], -v[134:135]
	v_add_f64 v[64:65], v[64:65], -v[172:173]
	v_fma_f64 v[172:173], v[76:77], s[38:39], v[162:163]
	v_fma_f64 v[162:163], v[76:77], s[48:49], v[162:163]
	v_add_f64 v[2:3], v[22:23], v[2:3]
	v_fma_f64 v[22:23], v[100:101], s[34:35], v[182:183]
	v_add_f64 v[0:1], v[6:7], v[0:1]
	v_fma_f64 v[6:7], v[100:101], s[34:35], -v[182:183]
	v_add_f64 v[68:69], v[172:173], v[68:69]
	v_mul_f64 v[172:173], v[90:91], s[48:49]
	v_add_f64 v[70:71], v[162:163], v[70:71]
	v_add_f64 v[20:21], v[22:23], v[20:21]
	v_fma_f64 v[22:23], v[102:103], s[4:5], v[186:187]
	v_add_f64 v[4:5], v[6:7], v[4:5]
	v_fma_f64 v[6:7], v[102:103], s[56:57], v[186:187]
	v_fma_f64 v[174:175], v[78:79], s[44:45], v[172:173]
	v_add_f64 v[2:3], v[22:23], v[2:3]
	v_fma_f64 v[22:23], v[106:107], s[6:7], v[188:189]
	v_add_f64 v[0:1], v[6:7], v[0:1]
	v_fma_f64 v[6:7], v[106:107], s[6:7], -v[188:189]
	v_add_f64 v[54:55], v[174:175], v[54:55]
	v_add_f64 v[20:21], v[22:23], v[20:21]
	v_fma_f64 v[22:23], v[108:109], s[48:49], v[194:195]
	v_add_f64 v[4:5], v[6:7], v[4:5]
	v_fma_f64 v[6:7], v[108:109], s[38:39], v[194:195]
	v_add_f64 v[22:23], v[22:23], v[2:3]
	v_mul_f64 v[2:3], v[116:117], s[38:39]
	v_add_f64 v[26:27], v[6:7], v[0:1]
	v_mul_f64 v[0:1], v[94:95], s[6:7]
	v_mul_f64 v[6:7], v[82:83], s[24:25]
	v_fma_f64 v[198:199], v[112:113], s[44:45], v[2:3]
	v_fma_f64 v[2:3], v[112:113], s[44:45], -v[2:3]
	v_add_f64 v[0:1], v[146:147], v[0:1]
	v_mul_f64 v[146:147], v[132:133], s[36:37]
	v_add_f64 v[6:7], v[6:7], -v[152:153]
	v_mul_f64 v[152:153], v[106:107], s[36:37]
	v_add_f64 v[20:21], v[198:199], v[20:21]
	v_add_f64 v[24:25], v[2:3], v[4:5]
	v_mul_f64 v[4:5], v[104:105], s[24:25]
	v_mul_f64 v[2:3], v[78:79], s[6:7]
	v_add_f64 v[0:1], v[0:1], v[42:43]
	v_add_f64 v[146:147], v[192:193], v[146:147]
	v_mul_f64 v[42:43], v[104:105], s[10:11]
	v_add_f64 v[152:153], v[152:153], -v[190:191]
	v_add_f64 v[4:5], v[154:155], v[4:5]
	v_add_f64 v[2:3], v[2:3], -v[144:145]
	v_mul_f64 v[144:145], v[100:101], s[22:23]
	v_mul_f64 v[154:155], v[120:121], s[34:35]
	v_add_f64 v[0:1], v[4:5], v[0:1]
	v_add_f64 v[2:3], v[2:3], v[60:61]
	v_add_f64 v[144:145], v[144:145], -v[180:181]
	v_fma_f64 v[60:61], v[80:81], s[46:47], v[42:43]
	v_mul_f64 v[4:5], v[118:119], s[36:37]
	v_fma_f64 v[42:43], v[80:81], s[8:9], v[42:43]
	v_add_f64 v[154:155], v[200:201], v[154:155]
	v_add_f64 v[0:1], v[50:51], v[0:1]
	;; [unrolled: 1-line block ×3, first 2 shown]
	v_mul_f64 v[50:51], v[124:125], s[16:17]
	v_add_f64 v[60:61], v[60:61], v[68:69]
	v_mul_f64 v[68:69], v[98:99], s[8:9]
	v_fma_f64 v[6:7], v[84:85], s[30:31], v[4:5]
	v_add_f64 v[42:43], v[42:43], v[70:71]
	v_fma_f64 v[4:5], v[84:85], s[42:43], v[4:5]
	v_add_f64 v[0:1], v[62:63], v[0:1]
	v_add_f64 v[2:3], v[52:53], v[2:3]
	v_fma_f64 v[52:53], v[88:89], s[28:29], v[50:51]
	v_mul_f64 v[62:63], v[130:131], s[6:7]
	v_fma_f64 v[174:175], v[82:83], s[10:11], v[68:69]
	v_add_f64 v[6:7], v[6:7], v[60:61]
	v_mul_f64 v[60:61], v[114:115], s[42:43]
	v_add_f64 v[4:5], v[4:5], v[42:43]
	v_fma_f64 v[42:43], v[78:79], s[44:45], -v[172:173]
	v_fma_f64 v[50:51], v[88:89], s[52:53], v[50:51]
	v_add_f64 v[0:1], v[66:67], v[0:1]
	v_add_f64 v[2:3], v[64:65], v[2:3]
	v_mul_f64 v[66:67], v[132:133], s[34:35]
	v_fma_f64 v[64:65], v[96:97], s[56:57], v[62:63]
	v_add_f64 v[54:55], v[174:175], v[54:55]
	v_add_f64 v[6:7], v[52:53], v[6:7]
	v_fma_f64 v[174:175], v[86:87], s[36:37], v[60:61]
	v_mul_f64 v[52:53], v[122:123], s[52:53]
	v_add_f64 v[42:43], v[42:43], v[72:73]
	v_add_f64 v[4:5], v[50:51], v[4:5]
	v_fma_f64 v[50:51], v[82:83], s[10:11], -v[68:69]
	v_mul_f64 v[72:73], v[116:117], s[40:41]
	v_add_f64 v[0:1], v[146:147], v[0:1]
	v_mul_f64 v[146:147], v[78:79], s[16:17]
	v_add_f64 v[2:3], v[144:145], v[2:3]
	v_fma_f64 v[144:145], v[102:103], s[54:55], v[66:67]
	v_fma_f64 v[66:67], v[102:103], s[26:27], v[66:67]
	v_add_f64 v[6:7], v[64:65], v[6:7]
	v_add_f64 v[54:55], v[174:175], v[54:55]
	v_fma_f64 v[174:175], v[92:93], s[16:17], v[52:53]
	v_mul_f64 v[64:65], v[126:127], s[4:5]
	v_add_f64 v[42:43], v[50:51], v[42:43]
	v_fma_f64 v[50:51], v[86:87], s[36:37], -v[60:61]
	v_add_f64 v[128:129], v[146:147], -v[128:129]
	v_mul_f64 v[146:147], v[104:105], s[22:23]
	v_add_f64 v[2:3], v[152:153], v[2:3]
	v_add_f64 v[6:7], v[144:145], v[6:7]
	v_mul_f64 v[144:145], v[110:111], s[26:27]
	v_add_f64 v[54:55], v[174:175], v[54:55]
	v_fma_f64 v[174:175], v[100:101], s[6:7], v[64:65]
	v_add_f64 v[42:43], v[50:51], v[42:43]
	v_fma_f64 v[50:51], v[96:97], s[4:5], v[62:63]
	v_add_f64 v[40:41], v[128:129], v[40:41]
	v_add_f64 v[136:137], v[136:137], v[146:147]
	v_mul_f64 v[128:129], v[118:119], s[34:35]
	v_add_f64 v[54:55], v[174:175], v[54:55]
	v_fma_f64 v[174:175], v[106:107], s[34:35], v[144:145]
	v_add_f64 v[4:5], v[50:51], v[4:5]
	v_fma_f64 v[50:51], v[92:93], s[16:17], -v[52:53]
	v_add_f64 v[40:41], v[134:135], v[40:41]
	v_add_f64 v[38:39], v[136:137], v[38:39]
	v_mul_f64 v[136:137], v[86:87], s[34:35]
	v_add_f64 v[128:129], v[142:143], v[128:129]
	v_mul_f64 v[134:135], v[124:125], s[36:37]
	v_add_f64 v[54:55], v[174:175], v[54:55]
	v_add_f64 v[4:5], v[66:67], v[4:5]
	;; [unrolled: 1-line block ×3, first 2 shown]
	v_fma_f64 v[50:51], v[100:101], s[6:7], -v[64:65]
	v_mul_f64 v[64:65], v[110:111], s[8:9]
	v_add_f64 v[136:137], v[136:137], -v[140:141]
	v_add_f64 v[38:39], v[128:129], v[38:39]
	v_add_f64 v[134:135], v[150:151], v[134:135]
	v_mul_f64 v[128:129], v[92:93], s[36:37]
	v_add_f64 v[42:43], v[50:51], v[42:43]
	v_add_f64 v[40:41], v[136:137], v[40:41]
	v_mul_f64 v[136:137], v[130:131], s[44:45]
	v_add_f64 v[38:39], v[134:135], v[38:39]
	v_add_f64 v[128:129], v[128:129], -v[148:149]
	v_mul_f64 v[134:135], v[100:101], s[44:45]
	v_add_f64 v[136:137], v[158:159], v[136:137]
	v_add_f64 v[40:41], v[128:129], v[40:41]
	v_add_f64 v[134:135], v[134:135], -v[156:157]
	v_mul_f64 v[128:129], v[132:133], s[24:25]
	v_add_f64 v[38:39], v[136:137], v[38:39]
	v_mul_f64 v[136:137], v[106:107], s[24:25]
	v_add_f64 v[40:41], v[134:135], v[40:41]
	v_add_f64 v[128:129], v[166:167], v[128:129]
	v_mul_f64 v[134:135], v[120:121], s[10:11]
	v_add_f64 v[136:137], v[136:137], -v[164:165]
	v_add_f64 v[38:39], v[128:129], v[38:39]
	v_mul_f64 v[128:129], v[112:113], s[10:11]
	v_add_f64 v[134:135], v[170:171], v[134:135]
	v_add_f64 v[40:41], v[136:137], v[40:41]
	v_mul_f64 v[136:137], v[94:95], s[22:23]
	v_add_f64 v[128:129], v[128:129], -v[168:169]
	v_add_f64 v[38:39], v[134:135], v[38:39]
	v_fma_f64 v[138:139], v[76:77], s[20:21], v[136:137]
	v_add_f64 v[36:37], v[138:139], v[36:37]
	v_mul_f64 v[138:139], v[104:105], s[34:35]
	v_fma_f64 v[140:141], v[80:81], s[54:55], v[138:139]
	v_add_f64 v[36:37], v[140:141], v[36:37]
	v_mul_f64 v[140:141], v[90:91], s[20:21]
	v_fma_f64 v[142:143], v[78:79], s[22:23], -v[140:141]
	v_add_f64 v[48:49], v[142:143], v[48:49]
	v_mul_f64 v[142:143], v[98:99], s[54:55]
	v_fma_f64 v[146:147], v[82:83], s[34:35], -v[142:143]
	v_add_f64 v[48:49], v[146:147], v[48:49]
	v_mul_f64 v[146:147], v[118:119], s[44:45]
	v_fma_f64 v[148:149], v[84:85], s[48:49], v[146:147]
	v_add_f64 v[36:37], v[148:149], v[36:37]
	v_mul_f64 v[148:149], v[114:115], s[48:49]
	v_fma_f64 v[150:151], v[86:87], s[44:45], -v[148:149]
	v_add_f64 v[48:49], v[150:151], v[48:49]
	v_mul_f64 v[150:151], v[124:125], s[6:7]
	v_fma_f64 v[152:153], v[88:89], s[56:57], v[150:151]
	;; [unrolled: 6-line block ×3, first 2 shown]
	v_fma_f64 v[70:71], v[96:97], s[46:47], v[156:157]
	v_add_f64 v[36:37], v[158:159], v[36:37]
	v_mul_f64 v[158:159], v[126:127], s[8:9]
	v_fma_f64 v[164:165], v[100:101], s[10:11], -v[158:159]
	v_add_f64 v[48:49], v[164:165], v[48:49]
	v_mul_f64 v[164:165], v[132:133], s[16:17]
	v_fma_f64 v[166:167], v[102:103], s[28:29], v[164:165]
	v_add_f64 v[166:167], v[166:167], v[36:37]
	v_mul_f64 v[36:37], v[110:111], s[28:29]
	v_fma_f64 v[168:169], v[106:107], s[16:17], -v[36:37]
	v_fma_f64 v[36:37], v[106:107], s[16:17], v[36:37]
	v_add_f64 v[48:49], v[168:169], v[48:49]
	v_mul_f64 v[168:169], v[94:95], s[34:35]
	v_fma_f64 v[170:171], v[76:77], s[26:27], v[168:169]
	v_add_f64 v[58:59], v[170:171], v[58:59]
	v_mul_f64 v[170:171], v[104:105], s[44:45]
	v_mul_f64 v[104:105], v[104:105], s[6:7]
	v_fma_f64 v[174:175], v[80:81], s[48:49], v[170:171]
	v_fma_f64 v[50:51], v[80:81], s[4:5], v[104:105]
	v_add_f64 v[58:59], v[174:175], v[58:59]
	v_mul_f64 v[174:175], v[118:119], s[10:11]
	v_mul_f64 v[118:119], v[118:119], s[24:25]
	v_fma_f64 v[178:179], v[84:85], s[46:47], v[174:175]
	;; [unrolled: 5-line block ×3, first 2 shown]
	v_add_f64 v[58:59], v[180:181], v[58:59]
	v_mul_f64 v[180:181], v[130:131], s[36:37]
	v_mul_f64 v[130:131], v[130:131], s[16:17]
	v_fma_f64 v[182:183], v[96:97], s[42:43], v[180:181]
	v_fma_f64 v[62:63], v[96:97], s[30:31], v[180:181]
	v_add_f64 v[58:59], v[182:183], v[58:59]
	v_mul_f64 v[182:183], v[90:91], s[26:27]
	v_mul_f64 v[90:91], v[90:91], s[30:31]
	v_fma_f64 v[184:185], v[78:79], s[34:35], -v[182:183]
	v_add_f64 v[46:47], v[184:185], v[46:47]
	v_mul_f64 v[184:185], v[98:99], s[48:49]
	v_mul_f64 v[98:99], v[98:99], s[56:57]
	v_fma_f64 v[186:187], v[82:83], s[44:45], -v[184:185]
	;; [unrolled: 4-line block ×3, first 2 shown]
	v_fma_f64 v[60:61], v[86:87], s[10:11], v[186:187]
	v_add_f64 v[46:47], v[188:189], v[46:47]
	v_mul_f64 v[188:189], v[122:123], s[18:19]
	v_mul_f64 v[122:123], v[122:123], s[26:27]
	v_fma_f64 v[190:191], v[92:93], s[24:25], -v[188:189]
	v_add_f64 v[46:47], v[190:191], v[46:47]
	v_mul_f64 v[190:191], v[126:127], s[42:43]
	v_mul_f64 v[126:127], v[126:127], s[52:53]
	v_fma_f64 v[192:193], v[100:101], s[36:37], -v[190:191]
	v_fma_f64 v[68:69], v[100:101], s[36:37], v[190:191]
	v_add_f64 v[46:47], v[192:193], v[46:47]
	v_mul_f64 v[192:193], v[132:133], s[22:23]
	v_mul_f64 v[132:133], v[132:133], s[10:11]
	v_fma_f64 v[194:195], v[102:103], s[50:51], v[192:193]
	v_add_f64 v[58:59], v[194:195], v[58:59]
	v_mul_f64 v[194:195], v[110:111], s[50:51]
	v_fma_f64 v[196:197], v[106:107], s[22:23], -v[194:195]
	v_add_f64 v[196:197], v[196:197], v[46:47]
	v_mul_f64 v[46:47], v[94:95], s[36:37]
	v_fma_f64 v[94:95], v[76:77], s[30:31], v[46:47]
	v_fma_f64 v[46:47], v[76:77], s[42:43], v[46:47]
	v_add_f64 v[94:95], v[94:95], v[176:177]
	v_add_f64 v[46:47], v[46:47], v[74:75]
	v_fma_f64 v[176:177], v[80:81], s[56:57], v[104:105]
	v_fma_f64 v[74:75], v[100:101], s[10:11], v[158:159]
	v_add_f64 v[46:47], v[50:51], v[46:47]
	v_fma_f64 v[50:51], v[78:79], s[36:37], v[90:91]
	v_add_f64 v[94:95], v[176:177], v[94:95]
	;; [unrolled: 2-line block ×3, first 2 shown]
	v_add_f64 v[50:51], v[50:51], v[56:57]
	v_fma_f64 v[52:53], v[82:83], s[6:7], v[98:99]
	v_add_f64 v[94:95], v[176:177], v[94:95]
	v_fma_f64 v[176:177], v[78:79], s[36:37], -v[90:91]
	v_fma_f64 v[56:57], v[78:79], s[22:23], v[140:141]
	v_fma_f64 v[90:91], v[102:103], s[52:53], v[164:165]
	v_add_f64 v[50:51], v[52:53], v[50:51]
	v_fma_f64 v[52:53], v[88:89], s[54:55], v[124:125]
	v_add_f64 v[44:45], v[176:177], v[44:45]
	v_fma_f64 v[176:177], v[82:83], s[6:7], -v[98:99]
	v_add_f64 v[30:31], v[56:57], v[30:31]
	v_fma_f64 v[56:57], v[88:89], s[40:41], v[178:179]
	v_add_f64 v[46:47], v[52:53], v[46:47]
	v_fma_f64 v[52:53], v[86:87], s[24:25], v[114:115]
	;; [unrolled: 2-line block ×4, first 2 shown]
	v_add_f64 v[94:95], v[176:177], v[94:95]
	v_fma_f64 v[176:177], v[86:87], s[24:25], -v[114:115]
	v_add_f64 v[46:47], v[52:53], v[46:47]
	v_fma_f64 v[52:53], v[92:93], s[34:35], v[122:123]
	v_add_f64 v[44:45], v[176:177], v[44:45]
	v_fma_f64 v[176:177], v[96:97], s[52:53], v[130:131]
	;; [unrolled: 2-line block ×3, first 2 shown]
	v_add_f64 v[94:95], v[176:177], v[94:95]
	v_fma_f64 v[176:177], v[92:93], s[34:35], -v[122:123]
	v_add_f64 v[34:35], v[52:53], v[34:35]
	v_fma_f64 v[52:53], v[78:79], s[34:35], v[182:183]
	v_add_f64 v[44:45], v[176:177], v[44:45]
	v_fma_f64 v[176:177], v[102:103], s[8:9], v[132:133]
	v_fma_f64 v[78:79], v[106:107], s[34:35], -v[144:145]
	v_add_f64 v[32:33], v[52:53], v[32:33]
	v_fma_f64 v[52:53], v[80:81], s[38:39], v[170:171]
	v_add_f64 v[94:95], v[176:177], v[94:95]
	v_fma_f64 v[176:177], v[100:101], s[16:17], -v[126:127]
	v_add_f64 v[78:79], v[78:79], v[42:43]
	v_add_f64 v[34:35], v[52:53], v[34:35]
	v_fma_f64 v[52:53], v[82:83], s[44:45], v[184:185]
	v_add_f64 v[44:45], v[176:177], v[44:45]
	v_add_f64 v[32:33], v[52:53], v[32:33]
	v_fma_f64 v[52:53], v[84:85], s[8:9], v[174:175]
	v_add_f64 v[32:33], v[60:61], v[32:33]
	v_add_f64 v[34:35], v[52:53], v[34:35]
	v_fma_f64 v[52:53], v[76:77], s[50:51], v[136:137]
	v_fma_f64 v[60:61], v[80:81], s[26:27], v[138:139]
	v_mul_f64 v[76:77], v[116:117], s[42:43]
	v_mul_f64 v[80:81], v[120:121], s[22:23]
	v_add_f64 v[34:35], v[56:57], v[34:35]
	v_add_f64 v[28:29], v[52:53], v[28:29]
	v_fma_f64 v[52:53], v[82:83], s[34:35], v[142:143]
	v_fma_f64 v[56:57], v[84:85], s[38:39], v[146:147]
	v_mul_f64 v[84:85], v[116:117], s[20:21]
	v_fma_f64 v[82:83], v[102:103], s[46:47], v[132:133]
	v_fma_f64 v[98:99], v[108:109], s[20:21], v[80:81]
	;; [unrolled: 1-line block ×3, first 2 shown]
	v_add_f64 v[34:35], v[62:63], v[34:35]
	v_add_f64 v[28:29], v[60:61], v[28:29]
	v_fma_f64 v[60:61], v[86:87], s[44:45], v[148:149]
	v_add_f64 v[30:31], v[52:53], v[30:31]
	v_fma_f64 v[52:53], v[92:93], s[24:25], v[188:189]
	v_fma_f64 v[62:63], v[106:107], s[10:11], -v[64:65]
	v_fma_f64 v[64:65], v[106:107], s[10:11], v[64:65]
	v_fma_f64 v[86:87], v[102:103], s[20:21], v[192:193]
	v_add_f64 v[82:83], v[82:83], v[46:47]
	v_add_f64 v[28:29], v[56:57], v[28:29]
	v_fma_f64 v[56:57], v[92:93], s[6:7], v[152:153]
	v_add_f64 v[30:31], v[60:61], v[30:31]
	v_add_f64 v[32:33], v[52:53], v[32:33]
	v_fma_f64 v[52:53], v[88:89], s[4:5], v[150:151]
	v_fma_f64 v[60:61], v[100:101], s[16:17], v[126:127]
	;; [unrolled: 1-line block ×3, first 2 shown]
	v_add_f64 v[62:63], v[62:63], v[44:45]
	v_fma_f64 v[100:101], v[112:113], s[22:23], -v[84:85]
	v_fma_f64 v[84:85], v[112:113], s[22:23], v[84:85]
	v_add_f64 v[86:87], v[86:87], v[34:35]
	v_add_f64 v[34:35], v[154:155], v[0:1]
	v_mul_lo_u16 v0, v248, 17
	v_and_b32_e32 v0, 0xffff, v0
	v_add_lshl_u32 v0, v204, v0, 4
	v_add_f64 v[30:31], v[56:57], v[30:31]
	v_mul_f64 v[56:57], v[120:121], s[6:7]
	v_add_f64 v[28:29], v[52:53], v[28:29]
	v_mul_f64 v[52:53], v[120:121], s[36:37]
	;; [unrolled: 2-line block ×4, first 2 shown]
	v_add_f64 v[30:31], v[74:75], v[30:31]
	v_fma_f64 v[74:75], v[112:113], s[36:37], -v[76:77]
	v_add_f64 v[28:29], v[70:71], v[28:29]
	v_fma_f64 v[96:97], v[108:109], s[42:43], v[52:53]
	v_fma_f64 v[44:45], v[108:109], s[56:57], v[56:57]
	v_fma_f64 v[66:67], v[112:113], s[6:7], -v[68:69]
	v_fma_f64 v[70:71], v[112:113], s[24:25], v[72:73]
	v_fma_f64 v[92:93], v[108:109], s[18:19], v[60:61]
	;; [unrolled: 1-line block ×3, first 2 shown]
	v_fma_f64 v[72:73], v[112:113], s[24:25], -v[72:73]
	v_add_f64 v[64:65], v[64:65], v[50:51]
	v_add_f64 v[88:89], v[88:89], v[32:33]
	v_fma_f64 v[102:103], v[108:109], s[4:5], v[56:57]
	v_fma_f64 v[68:69], v[112:113], s[6:7], v[68:69]
	;; [unrolled: 1-line block ×4, first 2 shown]
	v_add_f64 v[32:33], v[160:161], v[2:3]
	v_add_f64 v[50:51], v[98:99], v[94:95]
	;; [unrolled: 1-line block ×20, first 2 shown]
	ds_write_b128 v0, v[12:15]
	ds_write_b128 v0, v[32:35] offset:16
	ds_write_b128 v0, v[36:39] offset:32
	;; [unrolled: 1-line block ×16, first 2 shown]
.LBB0_7:
	s_or_b32 exec_lo, exec_lo, s33
	v_and_b32_e32 v0, 0xff, v248
	v_add_co_u32 v110, null, 0x55, v248
	v_add_co_u32 v111, null, 0xaa, v248
	v_mul_lo_u16 v0, 0xf1, v0
	v_and_b32_e32 v54, 0xff, v110
	v_add_co_u32 v2, null, 0xff, v248
	v_and_b32_e32 v62, 0xff, v111
	v_lshrrev_b16 v8, 12, v0
	v_mul_lo_u16 v0, 0xf1, v54
	v_mov_b32_e32 v3, 0xf0f1
	v_mov_b32_e32 v9, 5
	v_add_co_u32 v6, null, 0x154, v248
	v_mul_lo_u16 v1, v8, 17
	v_lshrrev_b16 v24, 12, v0
	v_mul_u32_u24_sdwa v0, v2, v3 dst_sel:DWORD dst_unused:UNUSED_PAD src0_sel:WORD_0 src1_sel:DWORD
	s_load_dwordx4 s[4:7], s[0:1], 0x0
	s_waitcnt lgkmcnt(0)
	v_sub_nc_u16 v25, v248, v1
	v_mul_lo_u16 v1, 0xf1, v62
	v_mul_lo_u16 v4, v24, 17
	v_lshrrev_b32_e32 v109, 20, v0
	s_barrier
	v_lshlrev_b32_sdwa v5, v9, v25 dst_sel:DWORD dst_unused:UNUSED_PAD src0_sel:DWORD src1_sel:BYTE_0
	v_lshrrev_b16 v26, 12, v1
	buffer_gl0_inv
	v_sub_nc_u16 v27, v110, v4
	v_mul_u32_u24_sdwa v0, v6, v3 dst_sel:DWORD dst_unused:UNUSED_PAD src0_sel:WORD_0 src1_sel:DWORD
	global_load_dwordx4 v[36:39], v5, s[2:3]
	v_mul_lo_u16 v1, v26, 17
	v_mul_lo_u16 v4, v109, 17
	v_lshlrev_b32_sdwa v3, v9, v27 dst_sel:DWORD dst_unused:UNUSED_PAD src0_sel:DWORD src1_sel:BYTE_0
	v_lshrrev_b32_e32 v120, 20, v0
	v_mov_b32_e32 v0, 4
	v_sub_nc_u16 v121, v111, v1
	v_sub_nc_u16 v122, v2, v4
	s_clause 0x1
	global_load_dwordx4 v[48:51], v3, s[2:3] offset:16
	global_load_dwordx4 v[44:47], v3, s[2:3]
	v_mul_lo_u16 v1, v120, 17
	v_lshlrev_b32_sdwa v2, v9, v121 dst_sel:DWORD dst_unused:UNUSED_PAD src0_sel:DWORD src1_sel:BYTE_0
	v_add_lshl_u32 v250, v204, v248, 4
	global_load_dwordx4 v[40:43], v5, s[2:3] offset:16
	v_add_co_u32 v23, s0, 0xffffffcd, v248
	global_load_dwordx4 v[103:106], v2, s[2:3] offset:16
	v_lshlrev_b16 v3, 1, v122
	v_sub_nc_u16 v123, v6, v1
	global_load_dwordx4 v[28:31], v2, s[2:3]
	s_mov_b32 s9, 0xbfebb67a
	s_mov_b32 s16, 0x134454ff
	v_lshlrev_b32_sdwa v1, v0, v3 dst_sel:DWORD dst_unused:UNUSED_PAD src0_sel:DWORD src1_sel:WORD_0
	s_mov_b32 s17, 0x3fee6f0e
	s_mov_b32 s19, 0xbfee6f0e
	;; [unrolled: 1-line block ×4, first 2 shown]
	global_load_dwordx4 v[116:119], v1, s[2:3]
	v_lshlrev_b16 v2, 1, v123
	s_mov_b32 s20, 0x372fe950
	s_mov_b32 s21, 0x3fd3c6ef
	v_lshl_add_u32 v220, v248, 4, v224
	v_lshl_add_u32 v249, v248, 4, v224
	v_lshlrev_b32_sdwa v0, v0, v2 dst_sel:DWORD dst_unused:UNUSED_PAD src0_sel:DWORD src1_sel:WORD_0
	s_clause 0x2
	global_load_dwordx4 v[112:115], v1, s[2:3] offset:16
	global_load_dwordx4 v[32:35], v0, s[2:3]
	global_load_dwordx4 v[124:127], v0, s[2:3] offset:16
	ds_read_b128 v[55:58], v250 offset:6800
	ds_read_b128 v[63:66], v250 offset:13600
	;; [unrolled: 1-line block ×11, first 2 shown]
	s_waitcnt vmcnt(9) lgkmcnt(10)
	v_mul_f64 v[0:1], v[57:58], v[38:39]
	v_mul_f64 v[2:3], v[55:56], v[38:39]
	s_waitcnt vmcnt(8) lgkmcnt(7)
	v_mul_f64 v[15:16], v[71:72], v[50:51]
	s_waitcnt vmcnt(7)
	v_mul_f64 v[9:10], v[69:70], v[46:47]
	v_mul_f64 v[11:12], v[67:68], v[46:47]
	;; [unrolled: 1-line block ×3, first 2 shown]
	s_waitcnt vmcnt(6)
	v_mul_f64 v[4:5], v[65:66], v[42:43]
	v_mul_f64 v[6:7], v[63:64], v[42:43]
	s_waitcnt vmcnt(5) lgkmcnt(4)
	v_mul_f64 v[21:22], v[85:86], v[105:106]
	v_mul_f64 v[52:53], v[83:84], v[105:106]
	s_waitcnt vmcnt(4)
	v_mul_f64 v[17:18], v[77:78], v[30:31]
	v_mul_f64 v[19:20], v[75:76], v[30:31]
	v_fma_f64 v[0:1], v[55:56], v[36:37], -v[0:1]
	v_fma_f64 v[2:3], v[57:58], v[36:37], v[2:3]
	s_waitcnt vmcnt(3) lgkmcnt(3)
	v_mul_f64 v[55:56], v[89:90], v[118:119]
	v_mul_f64 v[57:58], v[87:88], v[118:119]
	v_fma_f64 v[15:16], v[73:74], v[48:49], v[15:16]
	v_fma_f64 v[9:10], v[67:68], v[44:45], -v[9:10]
	v_fma_f64 v[11:12], v[69:70], v[44:45], v[11:12]
	v_fma_f64 v[13:14], v[71:72], v[48:49], -v[13:14]
	s_waitcnt vmcnt(2) lgkmcnt(2)
	v_mul_f64 v[59:60], v[93:94], v[114:115]
	v_fma_f64 v[4:5], v[63:64], v[40:41], -v[4:5]
	v_fma_f64 v[6:7], v[65:66], v[40:41], v[6:7]
	v_fma_f64 v[21:22], v[83:84], v[103:104], -v[21:22]
	v_mul_f64 v[67:68], v[91:92], v[114:115]
	s_waitcnt vmcnt(1) lgkmcnt(1)
	v_mul_f64 v[69:70], v[97:98], v[34:35]
	v_fma_f64 v[17:18], v[75:76], v[28:29], -v[17:18]
	buffer_store_dword v28, off, s[60:63], 0 offset:16 ; 4-byte Folded Spill
	buffer_store_dword v29, off, s[60:63], 0 offset:20 ; 4-byte Folded Spill
	;; [unrolled: 1-line block ×8, first 2 shown]
	s_waitcnt vmcnt(0) lgkmcnt(0)
	v_mul_f64 v[73:74], v[101:102], v[126:127]
	v_mul_f64 v[71:72], v[95:96], v[34:35]
	v_mul_f64 v[75:76], v[99:100], v[126:127]
	v_fma_f64 v[83:84], v[87:88], v[116:117], -v[55:56]
	buffer_store_dword v116, off, s[60:63], 0 offset:80 ; 4-byte Folded Spill
	buffer_store_dword v117, off, s[60:63], 0 offset:84 ; 4-byte Folded Spill
	;; [unrolled: 1-line block ×4, first 2 shown]
	v_fma_f64 v[87:88], v[91:92], v[112:113], -v[59:60]
	v_add_f64 v[59:60], v[2:3], v[6:7]
	v_fma_f64 v[91:92], v[95:96], v[32:33], -v[69:70]
	v_add_f64 v[69:70], v[11:12], v[15:16]
	v_fma_f64 v[95:96], v[99:100], v[124:125], -v[73:74]
	v_fma_f64 v[19:20], v[77:78], v[28:29], v[19:20]
	v_fma_f64 v[77:78], v[85:86], v[103:104], v[52:53]
	v_add_f64 v[52:53], v[0:1], v[4:5]
	v_fma_f64 v[85:86], v[89:90], v[116:117], v[57:58]
	ds_read_b128 v[55:58], v250
	ds_read_b128 v[63:66], v250 offset:1360
	buffer_store_dword v112, off, s[60:63], 0 offset:64 ; 4-byte Folded Spill
	buffer_store_dword v113, off, s[60:63], 0 offset:68 ; 4-byte Folded Spill
	;; [unrolled: 1-line block ×12, first 2 shown]
	s_waitcnt lgkmcnt(1)
	v_fma_f64 v[99:100], v[52:53], -0.5, v[55:56]
	v_add_f64 v[52:53], v[17:18], v[21:22]
	v_add_f64 v[73:74], v[55:56], v[0:1]
	s_waitcnt lgkmcnt(0)
	v_add_f64 v[103:104], v[63:64], v[9:10]
	v_fma_f64 v[107:108], v[69:70], -0.5, v[65:66]
	v_add_f64 v[0:1], v[0:1], -v[4:5]
	v_fma_f64 v[89:90], v[93:94], v[112:113], v[67:68]
	v_add_f64 v[67:68], v[9:10], v[13:14]
	v_fma_f64 v[93:94], v[97:98], v[32:33], v[71:72]
	v_fma_f64 v[75:76], v[101:102], v[124:125], v[75:76]
	v_add_f64 v[71:72], v[57:58], v[2:3]
	v_add_f64 v[97:98], v[65:66], v[11:12]
	v_fma_f64 v[101:102], v[59:60], -0.5, v[57:58]
	v_add_f64 v[2:3], v[2:3], -v[6:7]
	v_fma_f64 v[105:106], v[67:68], -0.5, v[63:64]
	ds_read_b128 v[55:58], v250 offset:2720
	ds_read_b128 v[63:66], v250 offset:4080
	v_add_f64 v[67:68], v[103:104], v[13:14]
	v_add_f64 v[103:104], v[85:86], -v[89:90]
	v_add_f64 v[69:70], v[97:98], v[15:16]
	s_waitcnt lgkmcnt(0)
	s_waitcnt_vscnt null, 0x0
	s_barrier
	buffer_gl0_inv
	v_fma_f64 v[112:113], v[52:53], -0.5, v[55:56]
	v_add_f64 v[52:53], v[19:20], v[77:78]
	v_add_f64 v[116:117], v[57:58], v[19:20]
	;; [unrolled: 1-line block ×4, first 2 shown]
	v_add_f64 v[4:5], v[11:12], -v[15:16]
	v_mad_u16 v11, v109, 51, v122
	v_fma_f64 v[114:115], v[52:53], -0.5, v[57:58]
	v_add_f64 v[57:58], v[71:72], v[6:7]
	v_add_f64 v[6:7], v[9:10], -v[13:14]
	v_add_f64 v[9:10], v[83:84], v[87:88]
	v_add_f64 v[14:15], v[17:18], -v[21:22]
	v_add_f64 v[12:13], v[19:20], -v[77:78]
	v_add_co_ci_u32_e64 v52, null, 0, -1, s0
	v_cmp_gt_u16_e64 s0, 51, v248
	v_add_f64 v[71:72], v[118:119], v[21:22]
	v_add_f64 v[20:21], v[63:64], v[83:84]
	;; [unrolled: 1-line block ×4, first 2 shown]
	v_cndmask_b32_e64 v60, v23, v248, s0
	v_add_f64 v[22:23], v[91:92], v[95:96]
	v_add_f64 v[116:117], v[93:94], -v[75:76]
	v_cndmask_b32_e64 v61, v52, 0, s0
	v_lshlrev_b64 v[52:53], 6, v[60:61]
	v_fma_f64 v[16:17], v[9:10], -0.5, v[63:64]
	v_add_f64 v[9:10], v[85:86], v[89:90]
	v_add_f64 v[63:64], v[93:94], v[75:76]
	v_add_co_u32 v52, s0, s2, v52
	v_add_co_ci_u32_e64 v53, s0, s3, v53, s0
	s_mov_b32 s0, 0xe8584caa
	s_mov_b32 s1, 0x3febb67a
	;; [unrolled: 1-line block ×3, first 2 shown]
	v_fma_f64 v[97:98], v[14:15], s[0:1], v[114:115]
	v_fma_f64 v[22:23], v[22:23], -0.5, v[79:80]
	v_add_f64 v[79:80], v[79:80], v[91:92]
	v_fma_f64 v[93:94], v[14:15], s[8:9], v[114:115]
	v_fma_f64 v[18:19], v[9:10], -0.5, v[65:66]
	v_add_f64 v[9:10], v[65:66], v[85:86]
	v_fma_f64 v[118:119], v[63:64], -0.5, v[81:82]
	v_add_f64 v[63:64], v[20:21], v[87:88]
	v_add_f64 v[20:21], v[83:84], -v[87:88]
	v_fma_f64 v[81:82], v[0:1], s[0:1], v[101:102]
	v_fma_f64 v[83:84], v[4:5], s[0:1], v[105:106]
	;; [unrolled: 1-line block ×4, first 2 shown]
	v_add_f64 v[65:66], v[9:10], v[89:90]
	v_mov_b32_e32 v9, 51
	v_fma_f64 v[89:90], v[6:7], s[0:1], v[107:108]
	v_fma_f64 v[105:106], v[20:21], s[0:1], v[18:19]
	v_mul_u32_u24_sdwa v8, v8, v9 dst_sel:DWORD dst_unused:UNUSED_PAD src0_sel:WORD_0 src1_sel:DWORD
	v_mul_u32_u24_sdwa v10, v24, v9 dst_sel:DWORD dst_unused:UNUSED_PAD src0_sel:WORD_0 src1_sel:DWORD
	;; [unrolled: 1-line block ×3, first 2 shown]
	v_mad_u16 v24, v120, 51, v123
	v_add_nc_u32_sdwa v8, v8, v25 dst_sel:DWORD dst_unused:UNUSED_PAD src0_sel:DWORD src1_sel:BYTE_0
	v_add_nc_u32_sdwa v25, v10, v27 dst_sel:DWORD dst_unused:UNUSED_PAD src0_sel:DWORD src1_sel:BYTE_0
	;; [unrolled: 1-line block ×3, first 2 shown]
	v_add_f64 v[120:121], v[91:92], -v[95:96]
	v_and_b32_e32 v27, 0xffff, v11
	v_add_lshl_u32 v28, v204, v8, 4
	v_add_f64 v[10:11], v[77:78], v[75:76]
	v_add_f64 v[8:9], v[79:80], v[95:96]
	v_fma_f64 v[75:76], v[2:3], s[0:1], v[99:100]
	v_fma_f64 v[79:80], v[2:3], s[8:9], v[99:100]
	;; [unrolled: 1-line block ×10, first 2 shown]
	v_and_b32_e32 v24, 0xffff, v24
	v_add_lshl_u32 v3, v204, v25, 4
	v_add_lshl_u32 v2, v204, v26, 4
	;; [unrolled: 1-line block ×3, first 2 shown]
	ds_write_b128 v28, v[55:58]
	ds_write_b128 v28, v[75:78] offset:272
	v_fma_f64 v[114:115], v[120:121], s[8:9], v[118:119]
	v_fma_f64 v[118:119], v[120:121], s[0:1], v[118:119]
	v_add_lshl_u32 v0, v204, v24, 4
	buffer_store_dword v28, off, s[60:63], 0 offset:120 ; 4-byte Folded Spill
	ds_write_b128 v28, v[79:82] offset:544
	ds_write_b128 v3, v[67:70]
	ds_write_b128 v3, v[83:86] offset:272
	buffer_store_dword v3, off, s[60:63], 0 offset:128 ; 4-byte Folded Spill
	ds_write_b128 v3, v[87:90] offset:544
	ds_write_b128 v2, v[71:74]
	ds_write_b128 v2, v[91:94] offset:272
	;; [unrolled: 4-line block ×4, first 2 shown]
	buffer_store_dword v0, off, s[60:63], 0 offset:112 ; 4-byte Folded Spill
	v_mov_b32_e32 v24, 6
	ds_write_b128 v0, v[116:119] offset:544
	s_waitcnt lgkmcnt(0)
	s_waitcnt_vscnt null, 0x0
	s_barrier
	buffer_gl0_inv
	s_clause 0x3
	global_load_dwordx4 v[12:15], v[52:53], off offset:544
	global_load_dwordx4 v[68:71], v[52:53], off offset:560
	;; [unrolled: 1-line block ×4, first 2 shown]
	v_mul_lo_u16 v0, 0xa1, v54
	s_mov_b32 s8, 0x4755a5e
	s_mov_b32 s9, 0x3fe2cf23
	;; [unrolled: 1-line block ×3, first 2 shown]
	v_cmp_lt_u16_e64 s0, 50, v248
	v_lshrrev_b16 v61, 13, v0
	v_mul_lo_u16 v0, v61, 51
	v_sub_nc_u16 v63, v110, v0
	v_lshlrev_b32_sdwa v25, v24, v63 dst_sel:DWORD dst_unused:UNUSED_PAD src0_sel:DWORD src1_sel:BYTE_0
	s_clause 0x1
	global_load_dwordx4 v[52:55], v25, s[2:3] offset:544
	global_load_dwordx4 v[56:59], v25, s[2:3] offset:560
	ds_read_b128 v[76:79], v250 offset:4080
	ds_read_b128 v[80:83], v250 offset:8160
	;; [unrolled: 1-line block ×7, first 2 shown]
	s_waitcnt vmcnt(5) lgkmcnt(6)
	v_mul_f64 v[0:1], v[78:79], v[14:15]
	v_mul_f64 v[2:3], v[76:77], v[14:15]
	s_waitcnt vmcnt(4) lgkmcnt(5)
	v_mul_f64 v[4:5], v[82:83], v[70:71]
	v_mul_f64 v[6:7], v[80:81], v[70:71]
	;; [unrolled: 3-line block ×3, first 2 shown]
	v_fma_f64 v[0:1], v[76:77], v[12:13], -v[0:1]
	buffer_store_dword v12, off, s[60:63], 0 ; 4-byte Folded Spill
	buffer_store_dword v13, off, s[60:63], 0 offset:4 ; 4-byte Folded Spill
	buffer_store_dword v14, off, s[60:63], 0 offset:8 ; 4-byte Folded Spill
	buffer_store_dword v15, off, s[60:63], 0 offset:12 ; 4-byte Folded Spill
	v_fma_f64 v[4:5], v[80:81], v[68:69], -v[4:5]
	v_fma_f64 v[6:7], v[82:83], v[68:69], v[6:7]
	v_fma_f64 v[8:9], v[84:85], v[72:73], -v[8:9]
	v_fma_f64 v[10:11], v[86:87], v[72:73], v[10:11]
	ds_read_b128 v[80:83], v250 offset:5440
	ds_read_b128 v[84:87], v250 offset:6800
	s_waitcnt vmcnt(2) lgkmcnt(4)
	v_mul_f64 v[14:15], v[90:91], v[66:67]
	s_waitcnt vmcnt(0) lgkmcnt(3)
	v_mul_f64 v[20:21], v[94:95], v[58:59]
	v_mul_f64 v[22:23], v[92:93], v[58:59]
	s_waitcnt lgkmcnt(1)
	v_mul_f64 v[16:17], v[82:83], v[54:55]
	v_mul_f64 v[18:19], v[80:81], v[54:55]
	v_add_f64 v[130:131], v[6:7], -v[10:11]
	v_add_f64 v[134:135], v[4:5], -v[8:9]
	v_fma_f64 v[14:15], v[88:89], v[64:65], -v[14:15]
	v_fma_f64 v[20:21], v[92:93], v[56:57], -v[20:21]
	v_fma_f64 v[22:23], v[94:95], v[56:57], v[22:23]
	v_fma_f64 v[16:17], v[80:81], v[52:53], -v[16:17]
	v_fma_f64 v[18:19], v[82:83], v[52:53], v[18:19]
	v_add_f64 v[132:133], v[0:1], -v[14:15]
	v_fma_f64 v[2:3], v[78:79], v[12:13], v[2:3]
	ds_read_b128 v[76:79], v250 offset:17680
	s_clause 0x1
	global_load_dwordx4 v[100:103], v25, s[2:3] offset:576
	global_load_dwordx4 v[96:99], v25, s[2:3] offset:592
	ds_read_b128 v[80:83], v250 offset:13600
	ds_read_b128 v[116:119], v250 offset:14960
	v_mul_lo_u16 v25, 0xa1, v62
	v_mul_f64 v[12:13], v[88:89], v[66:67]
	v_lshrrev_b16 v25, 13, v25
	v_mul_lo_u16 v26, v25, 51
	v_sub_nc_u16 v26, v111, v26
	v_lshlrev_b32_sdwa v24, v24, v26 dst_sel:DWORD dst_unused:UNUSED_PAD src0_sel:DWORD src1_sel:BYTE_0
	v_fma_f64 v[12:13], v[90:91], v[64:65], v[12:13]
	v_add_f64 v[128:129], v[2:3], -v[12:13]
	s_waitcnt vmcnt(1) lgkmcnt(1)
	v_mul_f64 v[88:89], v[82:83], v[102:103]
	v_fma_f64 v[108:109], v[80:81], v[100:101], -v[88:89]
	s_clause 0x1
	global_load_dwordx4 v[92:95], v24, s[2:3] offset:544
	global_load_dwordx4 v[88:91], v24, s[2:3] offset:560
	v_mul_f64 v[80:81], v[80:81], v[102:103]
	v_add_f64 v[146:147], v[20:21], -v[108:109]
	v_fma_f64 v[140:141], v[82:83], v[100:101], v[80:81]
	s_waitcnt vmcnt(2)
	v_mul_f64 v[80:81], v[78:79], v[98:99]
	v_fma_f64 v[142:143], v[76:77], v[96:97], -v[80:81]
	v_mul_f64 v[76:77], v[76:77], v[98:99]
	v_fma_f64 v[144:145], v[78:79], v[96:97], v[76:77]
	s_waitcnt vmcnt(1)
	v_mul_f64 v[76:77], v[86:87], v[94:95]
	v_fma_f64 v[156:157], v[84:85], v[92:93], -v[76:77]
	v_mul_f64 v[76:77], v[84:85], v[94:95]
	v_fma_f64 v[158:159], v[86:87], v[92:93], v[76:77]
	s_clause 0x1
	global_load_dwordx4 v[84:87], v24, s[2:3] offset:576
	global_load_dwordx4 v[80:83], v24, s[2:3] offset:592
	s_waitcnt vmcnt(2)
	v_mul_f64 v[76:77], v[114:115], v[90:91]
	v_lshlrev_b32_e32 v24, 6, v111
	v_fma_f64 v[160:161], v[112:113], v[88:89], -v[76:77]
	v_mul_f64 v[76:77], v[112:113], v[90:91]
	v_fma_f64 v[162:163], v[114:115], v[88:89], v[76:77]
	s_waitcnt vmcnt(1) lgkmcnt(0)
	v_mul_f64 v[76:77], v[118:119], v[86:87]
	v_fma_f64 v[164:165], v[116:117], v[84:85], -v[76:77]
	v_mul_f64 v[76:77], v[116:117], v[86:87]
	v_add_f64 v[116:117], v[4:5], v[8:9]
	v_fma_f64 v[166:167], v[118:119], v[84:85], v[76:77]
	ds_read_b128 v[76:79], v250 offset:19040
	s_waitcnt vmcnt(0) lgkmcnt(0)
	v_mul_f64 v[112:113], v[78:79], v[82:83]
	v_fma_f64 v[168:169], v[76:77], v[80:81], -v[112:113]
	v_mul_f64 v[76:77], v[76:77], v[82:83]
	v_fma_f64 v[170:171], v[78:79], v[80:81], v[76:77]
	v_add_f64 v[76:77], v[0:1], -v[4:5]
	v_add_f64 v[78:79], v[14:15], -v[8:9]
	v_add_f64 v[120:121], v[76:77], v[78:79]
	v_add_f64 v[76:77], v[2:3], -v[6:7]
	v_add_f64 v[78:79], v[12:13], -v[10:11]
	v_add_f64 v[122:123], v[76:77], v[78:79]
	ds_read_b128 v[76:79], v250
	ds_read_b128 v[112:115], v250 offset:1360
	s_waitcnt lgkmcnt(0)
	s_waitcnt_vscnt null, 0x0
	s_barrier
	buffer_gl0_inv
	v_fma_f64 v[124:125], v[116:117], -0.5, v[76:77]
	v_add_f64 v[116:117], v[6:7], v[10:11]
	v_fma_f64 v[126:127], v[116:117], -0.5, v[78:79]
	v_fma_f64 v[116:117], v[128:129], s[16:17], v[124:125]
	v_fma_f64 v[124:125], v[128:129], s[18:19], v[124:125]
	;; [unrolled: 1-line block ×10, first 2 shown]
	v_add_f64 v[124:125], v[0:1], v[14:15]
	v_fma_f64 v[118:119], v[122:123], s[20:21], v[118:119]
	v_fma_f64 v[122:123], v[122:123], s[20:21], v[126:127]
	v_add_f64 v[126:127], v[2:3], v[12:13]
	v_fma_f64 v[124:125], v[124:125], -0.5, v[76:77]
	v_add_f64 v[76:77], v[76:77], v[0:1]
	v_add_f64 v[0:1], v[4:5], -v[0:1]
	v_fma_f64 v[126:127], v[126:127], -0.5, v[78:79]
	v_add_f64 v[78:79], v[78:79], v[2:3]
	v_add_f64 v[2:3], v[6:7], -v[2:3]
	v_add_f64 v[4:5], v[76:77], v[4:5]
	v_add_f64 v[76:77], v[78:79], v[6:7]
	;; [unrolled: 1-line block ×3, first 2 shown]
	v_add_f64 v[8:9], v[8:9], -v[14:15]
	v_add_f64 v[6:7], v[76:77], v[10:11]
	v_add_f64 v[76:77], v[4:5], v[14:15]
	v_add_f64 v[4:5], v[10:11], -v[12:13]
	v_fma_f64 v[10:11], v[130:131], s[16:17], v[124:125]
	v_fma_f64 v[14:15], v[134:135], s[18:19], v[126:127]
	v_add_f64 v[0:1], v[0:1], v[8:9]
	v_add_f64 v[78:79], v[6:7], v[12:13]
	v_fma_f64 v[6:7], v[130:131], s[18:19], v[124:125]
	v_fma_f64 v[12:13], v[134:135], s[16:17], v[126:127]
	v_add_f64 v[2:3], v[2:3], v[4:5]
	v_fma_f64 v[4:5], v[128:129], s[8:9], v[6:7]
	v_fma_f64 v[6:7], v[128:129], s[10:11], v[10:11]
	;; [unrolled: 1-line block ×4, first 2 shown]
	v_add_f64 v[14:15], v[16:17], -v[142:143]
	v_fma_f64 v[124:125], v[0:1], s[20:21], v[4:5]
	v_fma_f64 v[128:129], v[0:1], s[20:21], v[6:7]
	;; [unrolled: 1-line block ×4, first 2 shown]
	v_add_f64 v[0:1], v[16:17], -v[20:21]
	v_add_f64 v[2:3], v[142:143], -v[108:109]
	;; [unrolled: 1-line block ×3, first 2 shown]
	v_add_f64 v[6:7], v[22:23], v[140:141]
	v_add_f64 v[8:9], v[18:19], -v[144:145]
	v_add_f64 v[10:11], v[22:23], -v[140:141]
	v_add_f64 v[0:1], v[0:1], v[2:3]
	v_add_f64 v[2:3], v[18:19], -v[22:23]
	v_fma_f64 v[6:7], v[6:7], -0.5, v[114:115]
	v_add_f64 v[2:3], v[2:3], v[4:5]
	v_add_f64 v[4:5], v[20:21], v[108:109]
	v_fma_f64 v[132:133], v[14:15], s[18:19], v[6:7]
	v_fma_f64 v[6:7], v[14:15], s[16:17], v[6:7]
	v_fma_f64 v[4:5], v[4:5], -0.5, v[112:113]
	v_fma_f64 v[134:135], v[146:147], s[10:11], v[132:133]
	v_fma_f64 v[6:7], v[146:147], s[8:9], v[6:7]
	;; [unrolled: 1-line block ×5, first 2 shown]
	v_add_f64 v[6:7], v[114:115], v[18:19]
	v_fma_f64 v[134:135], v[2:3], s[20:21], v[134:135]
	v_add_f64 v[2:3], v[18:19], v[144:145]
	v_fma_f64 v[12:13], v[10:11], s[8:9], v[12:13]
	v_fma_f64 v[4:5], v[10:11], s[10:11], v[4:5]
	v_add_f64 v[6:7], v[6:7], v[22:23]
	v_fma_f64 v[2:3], v[2:3], -0.5, v[114:115]
	v_fma_f64 v[132:133], v[0:1], s[20:21], v[12:13]
	v_fma_f64 v[136:137], v[0:1], s[20:21], v[4:5]
	v_add_f64 v[4:5], v[112:113], v[16:17]
	v_add_f64 v[0:1], v[16:17], v[142:143]
	;; [unrolled: 1-line block ×3, first 2 shown]
	v_add_f64 v[12:13], v[20:21], -v[16:17]
	v_add_f64 v[16:17], v[22:23], -v[18:19]
	;; [unrolled: 1-line block ×3, first 2 shown]
	v_add_f64 v[4:5], v[4:5], v[20:21]
	v_fma_f64 v[0:1], v[0:1], -0.5, v[112:113]
	v_add_f64 v[114:115], v[6:7], v[144:145]
	v_add_f64 v[20:21], v[164:165], -v[168:169]
	v_add_f64 v[12:13], v[12:13], v[18:19]
	v_add_f64 v[4:5], v[4:5], v[108:109]
	v_fma_f64 v[6:7], v[10:11], s[18:19], v[0:1]
	v_fma_f64 v[0:1], v[10:11], s[16:17], v[0:1]
	;; [unrolled: 1-line block ×4, first 2 shown]
	v_add_f64 v[112:113], v[4:5], v[142:143]
	v_add_f64 v[4:5], v[140:141], -v[144:145]
	v_fma_f64 v[0:1], v[8:9], s[10:11], v[0:1]
	v_fma_f64 v[6:7], v[8:9], s[8:9], v[6:7]
	;; [unrolled: 1-line block ×4, first 2 shown]
	v_add_f64 v[14:15], v[156:157], -v[168:169]
	v_add_f64 v[10:11], v[162:163], -v[166:167]
	v_add_f64 v[4:5], v[16:17], v[4:5]
	v_fma_f64 v[144:145], v[12:13], s[20:21], v[0:1]
	v_add_f64 v[0:1], v[156:157], -v[160:161]
	v_fma_f64 v[140:141], v[12:13], s[20:21], v[6:7]
	v_add_f64 v[6:7], v[162:163], v[166:167]
	v_add_f64 v[16:17], v[160:161], -v[164:165]
	v_fma_f64 v[146:147], v[4:5], s[20:21], v[2:3]
	v_add_f64 v[2:3], v[168:169], -v[164:165]
	v_fma_f64 v[142:143], v[4:5], s[20:21], v[8:9]
	v_add_f64 v[4:5], v[170:171], -v[166:167]
	v_fma_f64 v[6:7], v[6:7], -0.5, v[106:107]
	v_add_f64 v[8:9], v[158:159], -v[170:171]
	v_add_f64 v[0:1], v[0:1], v[2:3]
	v_add_f64 v[2:3], v[158:159], -v[162:163]
	v_fma_f64 v[18:19], v[14:15], s[18:19], v[6:7]
	v_fma_f64 v[6:7], v[14:15], s[16:17], v[6:7]
	v_add_f64 v[2:3], v[2:3], v[4:5]
	v_add_f64 v[4:5], v[160:161], v[164:165]
	v_fma_f64 v[18:19], v[16:17], s[10:11], v[18:19]
	v_fma_f64 v[6:7], v[16:17], s[8:9], v[6:7]
	v_fma_f64 v[4:5], v[4:5], -0.5, v[104:105]
	v_fma_f64 v[150:151], v[2:3], s[20:21], v[18:19]
	v_fma_f64 v[154:155], v[2:3], s[20:21], v[6:7]
	v_add_f64 v[6:7], v[106:107], v[158:159]
	v_add_f64 v[2:3], v[158:159], v[170:171]
	v_add_f64 v[18:19], v[162:163], -v[158:159]
	v_fma_f64 v[12:13], v[8:9], s[16:17], v[4:5]
	v_fma_f64 v[4:5], v[8:9], s[18:19], v[4:5]
	v_add_f64 v[6:7], v[6:7], v[162:163]
	v_fma_f64 v[2:3], v[2:3], -0.5, v[106:107]
	v_fma_f64 v[12:13], v[10:11], s[8:9], v[12:13]
	v_fma_f64 v[4:5], v[10:11], s[10:11], v[4:5]
	v_add_f64 v[6:7], v[6:7], v[166:167]
	v_fma_f64 v[148:149], v[0:1], s[20:21], v[12:13]
	v_fma_f64 v[152:153], v[0:1], s[20:21], v[4:5]
	v_add_f64 v[0:1], v[156:157], v[168:169]
	v_add_f64 v[4:5], v[104:105], v[156:157]
	v_add_f64 v[12:13], v[160:161], -v[156:157]
	v_add_f64 v[106:107], v[6:7], v[170:171]
	v_fma_f64 v[0:1], v[0:1], -0.5, v[104:105]
	v_add_f64 v[4:5], v[4:5], v[160:161]
	v_add_f64 v[12:13], v[12:13], v[20:21]
	v_fma_f64 v[6:7], v[10:11], s[18:19], v[0:1]
	v_fma_f64 v[0:1], v[10:11], s[16:17], v[0:1]
	v_add_f64 v[4:5], v[4:5], v[164:165]
	v_fma_f64 v[10:11], v[16:17], s[16:17], v[2:3]
	v_fma_f64 v[2:3], v[16:17], s[18:19], v[2:3]
	v_lshlrev_b32_e32 v16, 6, v110
	v_fma_f64 v[6:7], v[8:9], s[8:9], v[6:7]
	v_fma_f64 v[0:1], v[8:9], s[10:11], v[0:1]
	v_add_f64 v[104:105], v[4:5], v[168:169]
	v_add_f64 v[4:5], v[166:167], -v[170:171]
	v_fma_f64 v[8:9], v[14:15], s[10:11], v[10:11]
	v_fma_f64 v[2:3], v[14:15], s[8:9], v[2:3]
	;; [unrolled: 1-line block ×4, first 2 shown]
	v_cndmask_b32_e64 v0, 0, 0xff, s0
	v_add_f64 v[4:5], v[18:19], v[4:5]
	v_add_nc_u32_e32 v0, v60, v0
	v_add_lshl_u32 v255, v204, v0, 4
	v_mov_b32_e32 v0, 0xff
	ds_write_b128 v255, v[76:79]
	ds_write_b128 v255, v[116:119] offset:816
	ds_write_b128 v255, v[124:127] offset:1632
	;; [unrolled: 1-line block ×4, first 2 shown]
	v_mul_u32_u24_sdwa v1, v61, v0 dst_sel:DWORD dst_unused:UNUSED_PAD src0_sel:WORD_0 src1_sel:DWORD
	v_mul_u32_u24_sdwa v0, v25, v0 dst_sel:DWORD dst_unused:UNUSED_PAD src0_sel:WORD_0 src1_sel:DWORD
	v_add_nc_u32_sdwa v1, v1, v63 dst_sel:DWORD dst_unused:UNUSED_PAD src0_sel:DWORD src1_sel:BYTE_0
	v_add_nc_u32_sdwa v0, v0, v26 dst_sel:DWORD dst_unused:UNUSED_PAD src0_sel:DWORD src1_sel:BYTE_0
	v_fma_f64 v[158:159], v[4:5], s[20:21], v[8:9]
	v_fma_f64 v[162:163], v[4:5], s[20:21], v[2:3]
	v_add_lshl_u32 v1, v204, v1, 4
	ds_write_b128 v1, v[112:115]
	ds_write_b128 v1, v[132:135] offset:816
	ds_write_b128 v1, v[140:143] offset:1632
	;; [unrolled: 1-line block ×3, first 2 shown]
	buffer_store_dword v1, off, s[60:63], 0 offset:136 ; 4-byte Folded Spill
	ds_write_b128 v1, v[136:139] offset:3264
	v_lshlrev_b32_e32 v1, 6, v248
	v_add_lshl_u32 v4, v204, v0, 4
	v_add_co_u32 v2, s0, s2, v1
	v_add_co_ci_u32_e64 v3, null, s3, 0, s0
	ds_write_b128 v4, v[104:107]
	v_add_co_u32 v0, s0, 0x800, v2
	v_add_co_ci_u32_e64 v1, s0, 0, v3, s0
	ds_write_b128 v4, v[148:151] offset:816
	ds_write_b128 v4, v[156:159] offset:1632
	;; [unrolled: 1-line block ×3, first 2 shown]
	buffer_store_dword v4, off, s[60:63], 0 offset:132 ; 4-byte Folded Spill
	ds_write_b128 v4, v[152:155] offset:3264
	s_waitcnt lgkmcnt(0)
	s_waitcnt_vscnt null, 0x0
	s_barrier
	buffer_gl0_inv
	global_load_dwordx4 v[60:63], v[0:1], off offset:1760
	v_add_co_u32 v108, s0, 0xee0, v2
	v_add_co_ci_u32_e64 v109, s0, 0, v3, s0
	ds_read_b128 v[104:107], v250 offset:4080
	ds_read_b128 v[148:151], v250 offset:2720
	v_add_co_u32 v18, s0, s2, v16
	s_clause 0x2
	global_load_dwordx4 v[76:79], v[108:109], off offset:48
	global_load_dwordx4 v[140:143], v[108:109], off offset:16
	;; [unrolled: 1-line block ×3, first 2 shown]
	v_add_co_ci_u32_e64 v19, null, s3, 0, s0
	v_add_co_u32 v16, s0, 0x800, v18
	v_add_co_ci_u32_e64 v17, s0, 0, v19, s0
	v_add_co_u32 v18, s0, 0xee0, v18
	v_add_co_ci_u32_e64 v19, s0, 0, v19, s0
	v_add_co_u32 v24, s0, s2, v24
	v_add_co_ci_u32_e64 v25, null, s3, 0, s0
	s_waitcnt vmcnt(3) lgkmcnt(1)
	v_mul_f64 v[0:1], v[106:107], v[62:63]
	v_mul_f64 v[2:3], v[104:105], v[62:63]
	v_fma_f64 v[0:1], v[104:105], v[60:61], -v[0:1]
	v_fma_f64 v[2:3], v[106:107], v[60:61], v[2:3]
	ds_read_b128 v[104:107], v250 offset:8160
	ds_read_b128 v[112:115], v250 offset:9520
	s_waitcnt vmcnt(1) lgkmcnt(1)
	v_mul_f64 v[4:5], v[106:107], v[142:143]
	v_mul_f64 v[6:7], v[104:105], v[142:143]
	v_fma_f64 v[4:5], v[104:105], v[140:141], -v[4:5]
	v_fma_f64 v[6:7], v[106:107], v[140:141], v[6:7]
	ds_read_b128 v[104:107], v250 offset:12240
	ds_read_b128 v[144:147], v250 offset:10880
	;; [unrolled: 7-line block ×3, first 2 shown]
	s_clause 0x1
	global_load_dwordx4 v[120:123], v[16:17], off offset:1760
	global_load_dwordx4 v[116:119], v[18:19], off offset:48
	ds_read_b128 v[152:155], v250 offset:6800
	s_waitcnt lgkmcnt(2)
	v_mul_f64 v[12:13], v[104:105], v[78:79]
	v_mul_f64 v[14:15], v[106:107], v[78:79]
	v_add_f64 v[164:165], v[4:5], v[8:9]
	v_add_f64 v[166:167], v[6:7], v[10:11]
	v_add_f64 v[170:171], v[6:7], -v[10:11]
	v_add_f64 v[180:181], v[4:5], -v[8:9]
	v_fma_f64 v[12:13], v[106:107], v[76:77], v[12:13]
	v_fma_f64 v[14:15], v[104:105], v[76:77], -v[14:15]
	ds_read_b128 v[104:107], v250 offset:5440
	s_clause 0x1
	global_load_dwordx4 v[128:131], v[18:19], off offset:16
	global_load_dwordx4 v[124:127], v[18:19], off offset:32
	v_add_f64 v[168:169], v[2:3], -v[12:13]
	v_add_f64 v[178:179], v[0:1], -v[14:15]
	s_waitcnt vmcnt(3) lgkmcnt(0)
	v_mul_f64 v[16:17], v[106:107], v[122:123]
	v_mul_f64 v[20:21], v[104:105], v[122:123]
	v_fma_f64 v[16:17], v[104:105], v[120:121], -v[16:17]
	v_fma_f64 v[20:21], v[106:107], v[120:121], v[20:21]
	ds_read_b128 v[104:107], v250 offset:13600
	ds_read_b128 v[156:159], v250 offset:14960
	s_waitcnt vmcnt(1)
	v_mul_f64 v[18:19], v[114:115], v[130:131]
	s_waitcnt vmcnt(0) lgkmcnt(1)
	v_mul_f64 v[108:109], v[106:107], v[126:127]
	v_mul_f64 v[22:23], v[112:113], v[130:131]
	v_fma_f64 v[18:19], v[112:113], v[128:129], -v[18:19]
	v_fma_f64 v[160:161], v[104:105], v[124:125], -v[108:109]
	v_mul_f64 v[104:105], v[104:105], v[126:127]
	v_fma_f64 v[22:23], v[114:115], v[128:129], v[22:23]
	v_fma_f64 v[162:163], v[106:107], v[124:125], v[104:105]
	v_mul_f64 v[104:105], v[134:135], v[118:119]
	v_fma_f64 v[172:173], v[132:133], v[116:117], -v[104:105]
	v_mul_f64 v[104:105], v[132:133], v[118:119]
	v_fma_f64 v[174:175], v[134:135], v[116:117], v[104:105]
	v_add_co_u32 v104, s0, 0x800, v24
	v_add_co_ci_u32_e64 v105, s0, 0, v25, s0
	v_add_co_u32 v108, s0, 0xee0, v24
	v_add_co_ci_u32_e64 v109, s0, 0, v25, s0
	s_clause 0x1
	global_load_dwordx4 v[132:135], v[104:105], off offset:1760
	global_load_dwordx4 v[104:107], v[108:109], off offset:48
	s_waitcnt vmcnt(1)
	v_mul_f64 v[110:111], v[154:155], v[134:135]
	v_fma_f64 v[204:205], v[152:153], v[132:133], -v[110:111]
	v_mul_f64 v[110:111], v[152:153], v[134:135]
	v_fma_f64 v[206:207], v[154:155], v[132:133], v[110:111]
	s_clause 0x1
	global_load_dwordx4 v[112:115], v[108:109], off offset:16
	global_load_dwordx4 v[108:111], v[108:109], off offset:32
	s_waitcnt vmcnt(1)
	v_mul_f64 v[152:153], v[146:147], v[114:115]
	v_fma_f64 v[208:209], v[144:145], v[112:113], -v[152:153]
	v_mul_f64 v[144:145], v[144:145], v[114:115]
	v_fma_f64 v[210:211], v[146:147], v[112:113], v[144:145]
	s_waitcnt vmcnt(0) lgkmcnt(0)
	v_mul_f64 v[144:145], v[158:159], v[110:111]
	v_fma_f64 v[212:213], v[156:157], v[108:109], -v[144:145]
	v_mul_f64 v[144:145], v[156:157], v[110:111]
	v_fma_f64 v[214:215], v[158:159], v[108:109], v[144:145]
	ds_read_b128 v[144:147], v250 offset:19040
	s_waitcnt lgkmcnt(0)
	v_mul_f64 v[152:153], v[146:147], v[106:107]
	v_fma_f64 v[216:217], v[144:145], v[104:105], -v[152:153]
	v_mul_f64 v[144:145], v[144:145], v[106:107]
	v_fma_f64 v[218:219], v[146:147], v[104:105], v[144:145]
	v_add_f64 v[144:145], v[0:1], -v[4:5]
	v_add_f64 v[146:147], v[14:15], -v[8:9]
	v_add_f64 v[156:157], v[144:145], v[146:147]
	v_add_f64 v[144:145], v[2:3], -v[6:7]
	v_add_f64 v[146:147], v[12:13], -v[10:11]
	v_add_f64 v[158:159], v[144:145], v[146:147]
	ds_read_b128 v[144:147], v250
	ds_read_b128 v[152:155], v250 offset:1360
	buffer_store_dword v224, off, s[60:63], 0 offset:140 ; 4-byte Folded Spill
	s_waitcnt lgkmcnt(1)
	v_fma_f64 v[164:165], v[164:165], -0.5, v[144:145]
	v_fma_f64 v[166:167], v[166:167], -0.5, v[146:147]
	v_fma_f64 v[176:177], v[168:169], s[16:17], v[164:165]
	v_fma_f64 v[182:183], v[178:179], s[18:19], v[166:167]
	;; [unrolled: 1-line block ×12, first 2 shown]
	v_add_f64 v[156:157], v[0:1], v[14:15]
	v_add_f64 v[158:159], v[2:3], v[12:13]
	v_fma_f64 v[156:157], v[156:157], -0.5, v[144:145]
	v_fma_f64 v[158:159], v[158:159], -0.5, v[146:147]
	v_add_f64 v[144:145], v[144:145], v[0:1]
	v_add_f64 v[146:147], v[146:147], v[2:3]
	v_add_f64 v[0:1], v[4:5], -v[0:1]
	v_add_f64 v[2:3], v[6:7], -v[2:3]
	v_add_f64 v[4:5], v[144:145], v[4:5]
	v_add_f64 v[144:145], v[146:147], v[6:7]
	;; [unrolled: 1-line block ×4, first 2 shown]
	v_add_f64 v[8:9], v[8:9], -v[14:15]
	v_add_f64 v[144:145], v[4:5], v[14:15]
	v_add_f64 v[146:147], v[6:7], v[12:13]
	v_add_f64 v[4:5], v[10:11], -v[12:13]
	v_fma_f64 v[6:7], v[170:171], s[18:19], v[156:157]
	v_fma_f64 v[10:11], v[170:171], s[16:17], v[156:157]
	;; [unrolled: 1-line block ×4, first 2 shown]
	v_add_f64 v[0:1], v[0:1], v[8:9]
	v_add_f64 v[156:157], v[18:19], -v[160:161]
	ds_write_b128 v220, v[144:147]
	v_add_f64 v[2:3], v[2:3], v[4:5]
	v_fma_f64 v[4:5], v[168:169], s[8:9], v[6:7]
	v_fma_f64 v[6:7], v[168:169], s[10:11], v[10:11]
	;; [unrolled: 1-line block ×4, first 2 shown]
	v_add_f64 v[14:15], v[16:17], -v[172:173]
	v_fma_f64 v[192:193], v[0:1], s[20:21], v[4:5]
	v_fma_f64 v[180:181], v[0:1], s[20:21], v[6:7]
	v_fma_f64 v[194:195], v[2:3], s[20:21], v[8:9]
	v_fma_f64 v[182:183], v[2:3], s[20:21], v[10:11]
	v_add_f64 v[0:1], v[16:17], -v[18:19]
	v_add_f64 v[2:3], v[172:173], -v[160:161]
	;; [unrolled: 1-line block ×3, first 2 shown]
	v_add_f64 v[6:7], v[22:23], v[162:163]
	v_add_f64 v[8:9], v[20:21], -v[174:175]
	v_add_f64 v[10:11], v[22:23], -v[162:163]
	v_add_f64 v[0:1], v[0:1], v[2:3]
	v_add_f64 v[2:3], v[20:21], -v[22:23]
	s_waitcnt lgkmcnt(1)
	v_fma_f64 v[6:7], v[6:7], -0.5, v[154:155]
	v_add_f64 v[2:3], v[2:3], v[4:5]
	v_add_f64 v[4:5], v[18:19], v[160:161]
	v_fma_f64 v[158:159], v[14:15], s[18:19], v[6:7]
	v_fma_f64 v[6:7], v[14:15], s[16:17], v[6:7]
	v_fma_f64 v[4:5], v[4:5], -0.5, v[152:153]
	v_fma_f64 v[158:159], v[156:157], s[10:11], v[158:159]
	v_fma_f64 v[6:7], v[156:157], s[8:9], v[6:7]
	;; [unrolled: 1-line block ×5, first 2 shown]
	v_add_f64 v[6:7], v[154:155], v[20:21]
	v_fma_f64 v[170:171], v[2:3], s[20:21], v[158:159]
	v_add_f64 v[2:3], v[20:21], v[174:175]
	v_fma_f64 v[12:13], v[10:11], s[8:9], v[12:13]
	v_fma_f64 v[4:5], v[10:11], s[10:11], v[4:5]
	v_add_f64 v[6:7], v[6:7], v[22:23]
	v_fma_f64 v[2:3], v[2:3], -0.5, v[154:155]
	v_fma_f64 v[168:169], v[0:1], s[20:21], v[12:13]
	v_fma_f64 v[188:189], v[0:1], s[20:21], v[4:5]
	v_add_f64 v[4:5], v[152:153], v[16:17]
	v_add_f64 v[0:1], v[16:17], v[172:173]
	v_add_f64 v[6:7], v[6:7], v[162:163]
	v_add_f64 v[12:13], v[18:19], -v[16:17]
	v_add_f64 v[16:17], v[22:23], -v[20:21]
	;; [unrolled: 1-line block ×3, first 2 shown]
	v_add_f64 v[4:5], v[4:5], v[18:19]
	v_fma_f64 v[0:1], v[0:1], -0.5, v[152:153]
	v_add_f64 v[18:19], v[160:161], -v[172:173]
	v_add_f64 v[178:179], v[6:7], v[174:175]
	v_add_f64 v[4:5], v[4:5], v[160:161]
	v_fma_f64 v[6:7], v[10:11], s[18:19], v[0:1]
	v_fma_f64 v[0:1], v[10:11], s[16:17], v[0:1]
	;; [unrolled: 1-line block ×4, first 2 shown]
	v_add_f64 v[12:13], v[12:13], v[18:19]
	v_add_f64 v[176:177], v[4:5], v[172:173]
	v_add_f64 v[4:5], v[162:163], -v[174:175]
	v_fma_f64 v[0:1], v[8:9], s[10:11], v[0:1]
	v_fma_f64 v[6:7], v[8:9], s[8:9], v[6:7]
	;; [unrolled: 1-line block ×4, first 2 shown]
	v_add_f64 v[14:15], v[208:209], -v[212:213]
	v_add_f64 v[10:11], v[206:207], -v[218:219]
	v_add_f64 v[4:5], v[16:17], v[4:5]
	v_fma_f64 v[200:201], v[12:13], s[20:21], v[0:1]
	v_add_f64 v[0:1], v[208:209], -v[204:205]
	v_fma_f64 v[184:185], v[12:13], s[20:21], v[6:7]
	v_add_f64 v[6:7], v[206:207], v[218:219]
	v_add_f64 v[16:17], v[204:205], -v[216:217]
	v_fma_f64 v[202:203], v[4:5], s[20:21], v[2:3]
	v_add_f64 v[2:3], v[212:213], -v[216:217]
	v_fma_f64 v[186:187], v[4:5], s[20:21], v[8:9]
	v_add_f64 v[4:5], v[214:215], -v[218:219]
	v_fma_f64 v[6:7], v[6:7], -0.5, v[150:151]
	v_add_f64 v[8:9], v[210:211], -v[214:215]
	v_add_f64 v[0:1], v[0:1], v[2:3]
	v_add_f64 v[2:3], v[210:211], -v[206:207]
	v_fma_f64 v[18:19], v[14:15], s[16:17], v[6:7]
	v_fma_f64 v[6:7], v[14:15], s[18:19], v[6:7]
	v_add_f64 v[2:3], v[2:3], v[4:5]
	v_add_f64 v[4:5], v[204:205], v[216:217]
	v_fma_f64 v[18:19], v[16:17], s[10:11], v[18:19]
	v_fma_f64 v[6:7], v[16:17], s[8:9], v[6:7]
	v_fma_f64 v[4:5], v[4:5], -0.5, v[148:149]
	v_fma_f64 v[158:159], v[2:3], s[20:21], v[18:19]
	v_fma_f64 v[154:155], v[2:3], s[20:21], v[6:7]
	v_add_f64 v[6:7], v[150:151], v[206:207]
	v_add_f64 v[2:3], v[210:211], v[214:215]
	v_add_f64 v[18:19], v[206:207], -v[210:211]
	v_fma_f64 v[12:13], v[8:9], s[18:19], v[4:5]
	v_fma_f64 v[4:5], v[8:9], s[16:17], v[4:5]
	v_add_f64 v[6:7], v[6:7], v[210:211]
	v_fma_f64 v[2:3], v[2:3], -0.5, v[150:151]
	v_fma_f64 v[12:13], v[10:11], s[8:9], v[12:13]
	v_fma_f64 v[4:5], v[10:11], s[10:11], v[4:5]
	v_add_f64 v[6:7], v[6:7], v[214:215]
	v_fma_f64 v[156:157], v[0:1], s[20:21], v[12:13]
	v_fma_f64 v[152:153], v[0:1], s[20:21], v[4:5]
	v_add_f64 v[4:5], v[148:149], v[204:205]
	v_add_f64 v[0:1], v[208:209], v[212:213]
	v_add_f64 v[12:13], v[204:205], -v[208:209]
	v_add_f64 v[174:175], v[6:7], v[218:219]
	v_add_f64 v[4:5], v[4:5], v[208:209]
	v_fma_f64 v[0:1], v[0:1], -0.5, v[148:149]
	v_add_f64 v[12:13], v[12:13], v[20:21]
	v_add_f64 v[4:5], v[4:5], v[212:213]
	v_fma_f64 v[6:7], v[10:11], s[16:17], v[0:1]
	v_fma_f64 v[0:1], v[10:11], s[18:19], v[0:1]
	;; [unrolled: 1-line block ×4, first 2 shown]
	v_add_f64 v[172:173], v[4:5], v[216:217]
	v_add_f64 v[4:5], v[218:219], -v[214:215]
	v_fma_f64 v[6:7], v[8:9], s[8:9], v[6:7]
	v_fma_f64 v[0:1], v[8:9], s[10:11], v[0:1]
	;; [unrolled: 1-line block ×4, first 2 shown]
	v_add_f64 v[4:5], v[18:19], v[4:5]
	v_fma_f64 v[160:161], v[12:13], s[20:21], v[6:7]
	v_fma_f64 v[148:149], v[12:13], s[20:21], v[0:1]
	;; [unrolled: 1-line block ×4, first 2 shown]
	ds_write_b128 v249, v[176:179] offset:1360
	ds_write_b128 v249, v[172:175] offset:2720
	;; [unrolled: 1-line block ×14, first 2 shown]
	s_waitcnt lgkmcnt(0)
	s_waitcnt_vscnt null, 0x0
	s_barrier
	buffer_gl0_inv
	s_and_saveexec_b32 s1, vcc_lo
	s_cbranch_execz .LBB0_9
; %bb.8:
	v_add_co_u32 v221, s0, s12, v247
	v_add_co_ci_u32_e64 v222, null, s13, 0, s0
	v_mov_b32_e32 v25, v225
	v_add_co_u32 v0, s0, 0x4800, v221
	v_add_co_ci_u32_e64 v1, s0, 0, v222, s0
	v_mov_b32_e32 v24, v223
	v_mov_b32_e32 v26, v226
	;; [unrolled: 1-line block ×3, first 2 shown]
	global_load_dwordx4 v[204:207], v[0:1], off offset:1968
	v_add_co_u32 v0, s0, 0x4fb0, v221
	v_add_co_ci_u32_e64 v1, s0, 0, v222, s0
	v_mov_b32_e32 v28, v228
	global_load_dwordx4 v[208:211], v[0:1], off offset:1200
	v_add_co_u32 v0, s0, 0x5800, v221
	v_add_co_ci_u32_e64 v1, s0, 0, v222, s0
	s_clause 0x1
	global_load_dwordx4 v[212:215], v[0:1], off offset:272
	global_load_dwordx4 v[216:219], v[0:1], off offset:1472
	v_add_co_u32 v0, s0, 0x6000, v221
	v_add_co_ci_u32_e64 v1, s0, 0, v222, s0
	global_load_dwordx4 v[223:226], v[0:1], off offset:624
	buffer_store_dword v229, off, s[60:63], 0 offset:144 ; 4-byte Folded Spill
	buffer_store_dword v230, off, s[60:63], 0 offset:148 ; 4-byte Folded Spill
	;; [unrolled: 1-line block ×4, first 2 shown]
	global_load_dwordx4 v[227:230], v[0:1], off offset:1824
	v_add_co_u32 v0, s0, 0x6800, v221
	v_add_co_ci_u32_e64 v1, s0, 0, v222, s0
	global_load_dwordx4 v[231:234], v[0:1], off offset:976
	v_add_co_u32 v0, s0, 0x7000, v221
	v_add_co_ci_u32_e64 v1, s0, 0, v222, s0
	s_clause 0x1
	global_load_dwordx4 v[235:238], v[0:1], off offset:128
	global_load_dwordx4 v[239:242], v[0:1], off offset:1328
	ds_read_b128 v[243:246], v220
	v_add_co_u32 v4, s0, 0x7800, v221
	v_add_co_ci_u32_e64 v5, s0, 0, v222, s0
	v_add_co_u32 v16, s0, 0x8000, v221
	v_add_co_ci_u32_e64 v17, s0, 0, v222, s0
	global_load_dwordx4 v[0:3], v[4:5], off offset:480
	s_waitcnt vmcnt(9) lgkmcnt(0)
	v_mul_f64 v[6:7], v[245:246], v[206:207]
	v_mul_f64 v[8:9], v[243:244], v[206:207]
	v_fma_f64 v[243:244], v[243:244], v[204:205], -v[6:7]
	v_fma_f64 v[245:246], v[245:246], v[204:205], v[8:9]
	global_load_dwordx4 v[4:7], v[4:5], off offset:1680
	ds_write_b128 v220, v[243:246]
	ds_read_b128 v[204:207], v249 offset:1200
	ds_read_b128 v[243:246], v249 offset:2400
	;; [unrolled: 1-line block ×3, first 2 shown]
	s_waitcnt vmcnt(9) lgkmcnt(2)
	v_mul_f64 v[8:9], v[206:207], v[210:211]
	v_mul_f64 v[10:11], v[204:205], v[210:211]
	s_waitcnt vmcnt(8) lgkmcnt(1)
	v_mul_f64 v[12:13], v[245:246], v[214:215]
	v_mul_f64 v[14:15], v[243:244], v[214:215]
	;; [unrolled: 3-line block ×3, first 2 shown]
	v_fma_f64 v[204:205], v[204:205], v[208:209], -v[8:9]
	v_fma_f64 v[206:207], v[206:207], v[208:209], v[10:11]
	global_load_dwordx4 v[8:11], v[16:17], off offset:832
	v_fma_f64 v[208:209], v[243:244], v[212:213], -v[12:13]
	v_fma_f64 v[210:211], v[245:246], v[212:213], v[14:15]
	ds_read_b128 v[243:246], v249 offset:4800
	ds_read_b128 v[12:15], v249 offset:6000
	v_fma_f64 v[212:213], v[251:252], v[216:217], -v[18:19]
	v_fma_f64 v[214:215], v[253:254], v[216:217], v[20:21]
	global_load_dwordx4 v[251:254], v[16:17], off offset:2032
	s_waitcnt vmcnt(8) lgkmcnt(1)
	v_mul_f64 v[18:19], v[245:246], v[225:226]
	v_mul_f64 v[20:21], v[243:244], v[225:226]
	s_waitcnt vmcnt(7) lgkmcnt(0)
	v_mul_f64 v[16:17], v[14:15], v[229:230]
	v_fma_f64 v[216:217], v[243:244], v[223:224], -v[18:19]
	v_mul_f64 v[18:19], v[12:13], v[229:230]
	v_fma_f64 v[218:219], v[245:246], v[223:224], v[20:21]
	v_add_co_u32 v20, s0, 0x8800, v221
	v_add_co_ci_u32_e64 v21, s0, 0, v222, s0
	v_fma_f64 v[12:13], v[12:13], v[227:228], -v[16:17]
	ds_read_b128 v[223:226], v249 offset:7200
	ds_read_b128 v[243:246], v249 offset:15600
	v_fma_f64 v[14:15], v[14:15], v[227:228], v[18:19]
	global_load_dwordx4 v[227:230], v[20:21], off offset:1184
	v_add_co_u32 v20, s0, 0x9000, v221
	v_add_co_ci_u32_e64 v21, s0, 0, v222, s0
	s_waitcnt vmcnt(7) lgkmcnt(1)
	v_mul_f64 v[16:17], v[225:226], v[233:234]
	v_mul_f64 v[18:19], v[223:224], v[233:234]
	v_fma_f64 v[223:224], v[223:224], v[231:232], -v[16:17]
	v_fma_f64 v[225:226], v[225:226], v[231:232], v[18:19]
	ds_read_b128 v[231:234], v249 offset:8400
	s_waitcnt vmcnt(6) lgkmcnt(0)
	v_mul_f64 v[16:17], v[233:234], v[237:238]
	v_mul_f64 v[18:19], v[231:232], v[237:238]
	v_fma_f64 v[231:232], v[231:232], v[235:236], -v[16:17]
	v_fma_f64 v[233:234], v[233:234], v[235:236], v[18:19]
	ds_read_b128 v[235:238], v249 offset:9600
	s_waitcnt vmcnt(5) lgkmcnt(0)
	v_mul_f64 v[16:17], v[237:238], v[241:242]
	v_mul_f64 v[18:19], v[235:236], v[241:242]
	v_fma_f64 v[235:236], v[235:236], v[239:240], -v[16:17]
	v_fma_f64 v[237:238], v[237:238], v[239:240], v[18:19]
	ds_read_b128 v[239:242], v249 offset:10800
	s_waitcnt vmcnt(4) lgkmcnt(0)
	v_mul_f64 v[16:17], v[241:242], v[2:3]
	v_mul_f64 v[2:3], v[239:240], v[2:3]
	v_fma_f64 v[239:240], v[239:240], v[0:1], -v[16:17]
	v_fma_f64 v[241:242], v[241:242], v[0:1], v[2:3]
	ds_read_b128 v[0:3], v249 offset:12000
	s_waitcnt vmcnt(3) lgkmcnt(0)
	v_mul_f64 v[16:17], v[2:3], v[6:7]
	v_mul_f64 v[6:7], v[0:1], v[6:7]
	v_fma_f64 v[0:1], v[0:1], v[4:5], -v[16:17]
	v_fma_f64 v[2:3], v[2:3], v[4:5], v[6:7]
	ds_read_b128 v[4:7], v249 offset:13200
	s_waitcnt vmcnt(2) lgkmcnt(0)
	v_mul_f64 v[16:17], v[6:7], v[10:11]
	v_mul_f64 v[10:11], v[4:5], v[10:11]
	v_fma_f64 v[4:5], v[4:5], v[8:9], -v[16:17]
	v_fma_f64 v[6:7], v[6:7], v[8:9], v[10:11]
	ds_read_b128 v[8:11], v249 offset:14400
	s_waitcnt vmcnt(1) lgkmcnt(0)
	v_mul_f64 v[16:17], v[10:11], v[253:254]
	v_mul_f64 v[18:19], v[8:9], v[253:254]
	v_fma_f64 v[8:9], v[8:9], v[251:252], -v[16:17]
	v_fma_f64 v[10:11], v[10:11], v[251:252], v[18:19]
	s_waitcnt vmcnt(0)
	v_mul_f64 v[16:17], v[245:246], v[229:230]
	v_mul_f64 v[18:19], v[243:244], v[229:230]
	ds_read_b128 v[251:254], v249 offset:16800
	v_fma_f64 v[243:244], v[243:244], v[227:228], -v[16:17]
	v_fma_f64 v[245:246], v[245:246], v[227:228], v[18:19]
	global_load_dwordx4 v[227:230], v[20:21], off offset:336
	s_waitcnt vmcnt(0) lgkmcnt(0)
	v_mul_f64 v[16:17], v[253:254], v[229:230]
	v_mul_f64 v[18:19], v[251:252], v[229:230]
	v_fma_f64 v[251:252], v[251:252], v[227:228], -v[16:17]
	v_fma_f64 v[253:254], v[253:254], v[227:228], v[18:19]
	global_load_dwordx4 v[227:230], v[20:21], off offset:1536
	ds_read_b128 v[16:19], v249 offset:18000
	s_waitcnt vmcnt(0) lgkmcnt(0)
	v_mul_f64 v[20:21], v[18:19], v[229:230]
	v_mul_f64 v[22:23], v[16:17], v[229:230]
	v_fma_f64 v[16:17], v[16:17], v[227:228], -v[20:21]
	v_add_co_u32 v20, s0, 0x9800, v221
	v_add_co_ci_u32_e64 v21, s0, 0, v222, s0
	v_fma_f64 v[18:19], v[18:19], v[227:228], v[22:23]
	global_load_dwordx4 v[227:230], v[20:21], off offset:688
	ds_read_b128 v[20:23], v249 offset:19200
	ds_write_b128 v249, v[204:207] offset:1200
	ds_write_b128 v249, v[208:211] offset:2400
	;; [unrolled: 1-line block ×7, first 2 shown]
	v_mov_b32_e32 v223, v24
	s_waitcnt vmcnt(0) lgkmcnt(7)
	v_mul_f64 v[221:222], v[22:23], v[229:230]
	v_mul_f64 v[229:230], v[20:21], v[229:230]
	v_fma_f64 v[20:21], v[20:21], v[227:228], -v[221:222]
	v_fma_f64 v[22:23], v[22:23], v[227:228], v[229:230]
	s_clause 0x3
	buffer_load_dword v229, off, s[60:63], 0 offset:144
	buffer_load_dword v230, off, s[60:63], 0 offset:148
	;; [unrolled: 1-line block ×4, first 2 shown]
	v_mov_b32_e32 v228, v28
	v_mov_b32_e32 v227, v27
	;; [unrolled: 1-line block ×4, first 2 shown]
	ds_write_b128 v249, v[235:238] offset:9600
	ds_write_b128 v249, v[239:242] offset:10800
	;; [unrolled: 1-line block ×9, first 2 shown]
.LBB0_9:
	s_or_b32 exec_lo, exec_lo, s1
	s_waitcnt vmcnt(0) lgkmcnt(0)
	s_waitcnt_vscnt null, 0x0
	s_barrier
	buffer_gl0_inv
	s_and_saveexec_b32 s0, vcc_lo
	s_cbranch_execz .LBB0_11
; %bb.10:
	ds_read_b128 v[144:147], v220
	ds_read_b128 v[196:199], v220 offset:1200
	ds_read_b128 v[192:195], v220 offset:2400
	;; [unrolled: 1-line block ×16, first 2 shown]
.LBB0_11:
	s_or_b32 exec_lo, exec_lo, s0
	v_add_nc_u32_e32 v219, 0x550, v249
	v_add_nc_u32_e32 v218, 0xaa0, v249
	s_waitcnt lgkmcnt(0)
	s_barrier
	buffer_gl0_inv
	s_and_saveexec_b32 s33, vcc_lo
	s_cbranch_execz .LBB0_13
; %bb.12:
	v_add_f64 v[1:2], v[146:147], v[198:199]
	v_add_f64 v[3:4], v[144:145], v[196:197]
	v_add_f64 v[245:246], v[196:197], -v[225:226]
	s_mov_b32 s0, 0xacd6c6b4
	s_mov_b32 s1, 0xbfc7851a
	v_add_f64 v[233:234], v[198:199], -v[227:228]
	v_add_f64 v[212:213], v[192:193], -v[229:230]
	v_add_f64 v[243:244], v[198:199], v[227:228]
	s_mov_b32 s8, 0x5d8e7cdc
	s_mov_b32 s2, 0x7faef3
	;; [unrolled: 1-line block ×4, first 2 shown]
	buffer_store_dword v223, off, s[60:63], 0 offset:144 ; 4-byte Folded Spill
	buffer_store_dword v224, off, s[60:63], 0 offset:148 ; 4-byte Folded Spill
	v_add_f64 v[210:211], v[194:195], -v[231:232]
	v_add_f64 v[241:242], v[196:197], v[225:226]
	v_add_f64 v[218:219], v[180:181], -v[148:149]
	v_add_f64 v[223:224], v[194:195], v[231:232]
	s_mov_b32 s18, 0x4363dd80
	s_mov_b32 s10, 0x370991
	;; [unrolled: 1-line block ×4, first 2 shown]
	v_mov_b32_e32 v27, v225
	v_add_f64 v[1:2], v[1:2], v[194:195]
	v_add_f64 v[3:4], v[3:4], v[192:193]
	v_mul_f64 v[5:6], v[245:246], s[0:1]
	v_add_f64 v[216:217], v[182:183], -v[150:151]
	v_add_f64 v[221:222], v[192:193], v[229:230]
	v_mul_f64 v[7:8], v[233:234], s[0:1]
	v_mul_f64 v[9:10], v[212:213], s[8:9]
	v_add_f64 v[194:195], v[164:165], -v[152:153]
	v_mov_b32_e32 v28, v226
	v_mov_b32_e32 v29, v227
	v_mov_b32_e32 v30, v228
	v_add_f64 v[227:228], v[182:183], v[150:151]
	s_mov_b32 s16, 0x910ea3b9
	v_mul_f64 v[13:14], v[210:211], s[8:9]
	s_mov_b32 s20, 0x2a9d6da3
	v_mul_f64 v[17:18], v[218:219], s[18:19]
	s_mov_b32 s17, 0xbfeb34fa
	s_mov_b32 s21, 0x3fe58eea
	v_add_f64 v[198:199], v[200:201], -v[188:189]
	v_add_f64 v[196:197], v[202:203], v[190:191]
	v_add_f64 v[214:215], v[176:177], -v[156:157]
	v_add_f64 v[225:226], v[180:181], v[148:149]
	v_add_f64 v[1:2], v[1:2], v[182:183]
	;; [unrolled: 1-line block ×3, first 2 shown]
	v_fma_f64 v[11:12], v[243:244], s[2:3], v[5:6]
	v_fma_f64 v[5:6], v[243:244], s[2:3], -v[5:6]
	v_add_f64 v[182:183], v[202:203], -v[190:191]
	v_fma_f64 v[15:16], v[241:242], s[2:3], -v[7:8]
	v_fma_f64 v[7:8], v[241:242], s[2:3], v[7:8]
	v_fma_f64 v[21:22], v[223:224], s[10:11], v[9:10]
	v_add_f64 v[180:181], v[200:201], v[188:189]
	v_mul_f64 v[19:20], v[216:217], s[18:19]
	v_fma_f64 v[9:10], v[223:224], s[10:11], -v[9:10]
	v_add_f64 v[239:240], v[166:167], v[154:155]
	v_add_f64 v[237:238], v[164:165], v[152:153]
	s_mov_b32 s28, 0x6c9a05f6
	s_mov_b32 s22, 0x75d4884
	;; [unrolled: 1-line block ×4, first 2 shown]
	v_add_f64 v[208:209], v[168:169], -v[160:161]
	v_add_f64 v[192:193], v[178:179], v[158:159]
	v_add_f64 v[235:236], v[178:179], -v[158:159]
	s_mov_b32 s30, 0x7c9e640b
	s_mov_b32 s24, 0x6ed5f1bb
	v_add_f64 v[1:2], v[1:2], v[166:167]
	v_add_f64 v[3:4], v[3:4], v[164:165]
	;; [unrolled: 1-line block ×4, first 2 shown]
	v_mul_f64 v[164:165], v[194:195], s[20:21]
	v_add_f64 v[15:16], v[144:145], v[15:16]
	v_add_f64 v[7:8], v[144:145], v[7:8]
	s_mov_b32 s31, 0x3feca52d
	s_mov_b32 s25, 0xbfe348c8
	v_mov_b32_e32 v32, v229
	v_add_f64 v[204:205], v[184:185], -v[172:173]
	v_add_f64 v[206:207], v[170:171], v[162:163]
	v_mov_b32_e32 v33, v230
	v_mov_b32_e32 v34, v231
	v_mov_b32_e32 v35, v232
	v_add_f64 v[231:232], v[170:171], -v[162:163]
	v_add_f64 v[229:230], v[176:177], v[156:157]
	s_mov_b32 s26, 0x2b2883cd
	s_mov_b32 s27, 0x3fdc86fa
	;; [unrolled: 1-line block ×5, first 2 shown]
	v_add_f64 v[1:2], v[1:2], v[178:179]
	v_add_f64 v[3:4], v[3:4], v[176:177]
	;; [unrolled: 1-line block ×3, first 2 shown]
	v_fma_f64 v[21:22], v[227:228], s[16:17], v[17:18]
	v_add_f64 v[5:6], v[9:10], v[5:6]
	v_fma_f64 v[17:18], v[227:228], s[16:17], -v[17:18]
	v_add_f64 v[178:179], v[186:187], v[174:175]
	s_mov_b32 s37, 0xbfd183b1
	v_add_f64 v[176:177], v[184:185], v[172:173]
	s_mov_b32 s34, 0x3259b75e
	s_mov_b32 s35, 0x3fb79ee6
	;; [unrolled: 1-line block ×8, first 2 shown]
	v_mul_f64 v[251:252], v[208:209], s[0:1]
	v_mul_f64 v[253:254], v[231:232], s[0:1]
	v_mov_b32_e32 v31, v247
	v_mov_b32_e32 v0, v248
	v_mul_f64 v[247:248], v[204:205], s[20:21]
	v_add_f64 v[1:2], v[1:2], v[170:171]
	v_add_f64 v[3:4], v[3:4], v[168:169]
	s_mov_b32 s43, 0x3feec746
	v_add_f64 v[11:12], v[21:22], v[11:12]
	v_fma_f64 v[21:22], v[239:240], s[22:23], v[164:165]
	v_add_f64 v[5:6], v[17:18], v[5:6]
	v_mul_f64 v[17:18], v[235:236], s[28:29]
	v_fma_f64 v[164:165], v[239:240], s[22:23], -v[164:165]
	s_mov_b32 s42, s38
	s_mov_b32 s51, 0xbfe58eea
	s_mov_b32 s50, s20
	s_mov_b32 s53, 0xbfeca52d
	s_mov_b32 s52, s30
	s_mov_b32 s55, 0x3fe0d888
	s_mov_b32 s54, s18
	v_add_f64 v[1:2], v[1:2], v[186:187]
	v_add_f64 v[3:4], v[3:4], v[184:185]
	v_mul_f64 v[184:185], v[245:246], s[18:19]
	v_add_f64 v[11:12], v[21:22], v[11:12]
	v_add_f64 v[5:6], v[164:165], v[5:6]
	v_mul_f64 v[164:165], v[231:232], s[30:31]
	v_add_f64 v[1:2], v[1:2], v[202:203]
	v_add_f64 v[3:4], v[3:4], v[200:201]
	v_fma_f64 v[202:203], v[221:222], s[10:11], -v[13:14]
	v_add_f64 v[200:201], v[166:167], -v[154:155]
	v_fma_f64 v[13:14], v[221:222], s[10:11], v[13:14]
	v_fma_f64 v[166:167], v[225:226], s[16:17], -v[19:20]
	v_fma_f64 v[19:20], v[225:226], s[16:17], v[19:20]
	v_add_f64 v[1:2], v[1:2], v[190:191]
	v_add_f64 v[3:4], v[3:4], v[188:189]
	;; [unrolled: 1-line block ×3, first 2 shown]
	v_mul_f64 v[9:10], v[200:201], s[20:21]
	v_add_f64 v[7:8], v[13:14], v[7:8]
	v_mul_f64 v[13:14], v[214:215], s[28:29]
	v_add_f64 v[188:189], v[186:187], -v[174:175]
	v_add_f64 v[190:191], v[168:169], v[160:161]
	v_mul_f64 v[186:187], v[233:234], s[18:19]
	v_mul_f64 v[202:203], v[212:213], s[30:31]
	v_add_f64 v[1:2], v[1:2], v[174:175]
	v_add_f64 v[3:4], v[3:4], v[172:173]
	v_add_f64 v[15:16], v[166:167], v[15:16]
	v_fma_f64 v[166:167], v[237:238], s[22:23], -v[9:10]
	v_add_f64 v[7:8], v[19:20], v[7:8]
	v_mul_f64 v[19:20], v[208:209], s[30:31]
	v_fma_f64 v[9:10], v[237:238], s[22:23], v[9:10]
	v_fma_f64 v[21:22], v[192:193], s[24:25], v[13:14]
	v_fma_f64 v[13:14], v[192:193], s[24:25], -v[13:14]
	v_add_f64 v[1:2], v[1:2], v[162:163]
	v_add_f64 v[3:4], v[3:4], v[160:161]
	;; [unrolled: 1-line block ×3, first 2 shown]
	v_fma_f64 v[166:167], v[229:230], s[24:25], -v[17:18]
	v_fma_f64 v[17:18], v[229:230], s[24:25], v[17:18]
	v_add_f64 v[7:8], v[9:10], v[7:8]
	v_mul_f64 v[9:10], v[204:205], s[38:39]
	v_add_f64 v[11:12], v[21:22], v[11:12]
	v_fma_f64 v[21:22], v[206:207], s[26:27], v[19:20]
	v_add_f64 v[5:6], v[13:14], v[5:6]
	v_mul_f64 v[13:14], v[188:189], s[38:39]
	v_fma_f64 v[19:20], v[206:207], s[26:27], -v[19:20]
	v_add_f64 v[1:2], v[1:2], v[158:159]
	v_add_f64 v[3:4], v[3:4], v[156:157]
	;; [unrolled: 1-line block ×3, first 2 shown]
	v_fma_f64 v[166:167], v[190:191], s[26:27], -v[164:165]
	v_fma_f64 v[164:165], v[190:191], s[26:27], v[164:165]
	v_add_f64 v[7:8], v[17:18], v[7:8]
	v_mul_f64 v[17:18], v[198:199], s[48:49]
	v_add_f64 v[11:12], v[21:22], v[11:12]
	v_fma_f64 v[21:22], v[178:179], s[36:37], v[9:10]
	v_fma_f64 v[9:10], v[178:179], s[36:37], -v[9:10]
	v_add_f64 v[5:6], v[19:20], v[5:6]
	v_mul_f64 v[19:20], v[182:183], s[48:49]
	v_add_f64 v[1:2], v[1:2], v[154:155]
	v_add_f64 v[3:4], v[3:4], v[152:153]
	;; [unrolled: 1-line block ×3, first 2 shown]
	v_fma_f64 v[166:167], v[176:177], s[36:37], -v[13:14]
	v_add_f64 v[7:8], v[164:165], v[7:8]
	v_fma_f64 v[13:14], v[176:177], s[36:37], v[13:14]
	v_add_f64 v[11:12], v[21:22], v[11:12]
	v_fma_f64 v[21:22], v[196:197], s[34:35], v[17:18]
	v_add_f64 v[5:6], v[9:10], v[5:6]
	v_fma_f64 v[164:165], v[180:181], s[34:35], -v[19:20]
	v_mul_f64 v[9:10], v[210:211], s[30:31]
	v_fma_f64 v[17:18], v[196:197], s[34:35], -v[17:18]
	v_fma_f64 v[19:20], v[180:181], s[34:35], v[19:20]
	v_add_f64 v[1:2], v[1:2], v[150:151]
	v_add_f64 v[3:4], v[3:4], v[148:149]
	v_mul_f64 v[148:149], v[233:234], s[40:41]
	v_mul_f64 v[150:151], v[233:234], s[52:53]
	v_add_f64 v[15:16], v[166:167], v[15:16]
	v_add_f64 v[7:8], v[13:14], v[7:8]
	v_fma_f64 v[13:14], v[243:244], s[16:17], v[184:185]
	v_add_f64 v[23:24], v[21:22], v[11:12]
	v_fma_f64 v[11:12], v[241:242], s[16:17], -v[186:187]
	v_add_f64 v[170:171], v[17:18], v[5:6]
	v_fma_f64 v[5:6], v[223:224], s[26:27], v[202:203]
	v_add_f64 v[1:2], v[1:2], v[34:35]
	v_add_f64 v[21:22], v[164:165], v[15:16]
	v_mul_f64 v[15:16], v[218:219], s[40:41]
	v_add_f64 v[168:169], v[19:20], v[7:8]
	v_add_f64 v[7:8], v[146:147], v[13:14]
	v_fma_f64 v[13:14], v[221:222], s[26:27], -v[9:10]
	v_fma_f64 v[9:10], v[221:222], s[26:27], v[9:10]
	v_add_f64 v[11:12], v[144:145], v[11:12]
	buffer_store_dword v21, off, s[60:63], 0 offset:160 ; 4-byte Folded Spill
	buffer_store_dword v22, off, s[60:63], 0 offset:164 ; 4-byte Folded Spill
	;; [unrolled: 1-line block ×4, first 2 shown]
	v_mul_f64 v[23:24], v[188:189], s[20:21]
	v_add_f64 v[5:6], v[5:6], v[7:8]
	v_fma_f64 v[7:8], v[227:228], s[34:35], v[15:16]
	v_fma_f64 v[15:16], v[227:228], s[34:35], -v[15:16]
	v_add_f64 v[11:12], v[13:14], v[11:12]
	v_mul_f64 v[13:14], v[216:217], s[40:41]
	v_fma_f64 v[25:26], v[176:177], s[22:23], -v[23:24]
	v_add_f64 v[5:6], v[7:8], v[5:6]
	v_fma_f64 v[7:8], v[225:226], s[34:35], -v[13:14]
	v_add_f64 v[7:8], v[7:8], v[11:12]
	v_mul_f64 v[11:12], v[194:195], s[46:47]
	v_fma_f64 v[17:18], v[239:240], s[24:25], v[11:12]
	v_fma_f64 v[11:12], v[239:240], s[24:25], -v[11:12]
	v_add_f64 v[5:6], v[17:18], v[5:6]
	v_mul_f64 v[17:18], v[200:201], s[46:47]
	v_fma_f64 v[19:20], v[237:238], s[24:25], -v[17:18]
	v_add_f64 v[7:8], v[19:20], v[7:8]
	v_mul_f64 v[19:20], v[214:215], s[44:45]
	v_fma_f64 v[21:22], v[192:193], s[10:11], v[19:20]
	v_add_f64 v[5:6], v[21:22], v[5:6]
	v_mul_f64 v[21:22], v[235:236], s[44:45]
	v_fma_f64 v[172:173], v[229:230], s[10:11], -v[21:22]
	v_add_f64 v[7:8], v[172:173], v[7:8]
	v_fma_f64 v[172:173], v[206:207], s[2:3], v[251:252]
	v_add_f64 v[5:6], v[172:173], v[5:6]
	v_fma_f64 v[172:173], v[190:191], s[2:3], -v[253:254]
	v_add_f64 v[7:8], v[172:173], v[7:8]
	v_fma_f64 v[172:173], v[178:179], s[22:23], v[247:248]
	v_add_f64 v[7:8], v[25:26], v[7:8]
	v_mul_f64 v[25:26], v[198:199], s[38:39]
	v_add_f64 v[5:6], v[172:173], v[5:6]
	v_fma_f64 v[172:173], v[196:197], s[36:37], v[25:26]
	v_add_f64 v[174:175], v[172:173], v[5:6]
	v_mul_f64 v[5:6], v[182:183], s[38:39]
	v_fma_f64 v[172:173], v[180:181], s[36:37], -v[5:6]
	v_fma_f64 v[5:6], v[180:181], s[36:37], v[5:6]
	v_add_f64 v[172:173], v[172:173], v[7:8]
	v_fma_f64 v[7:8], v[243:244], s[16:17], -v[184:185]
	v_fma_f64 v[184:185], v[223:224], s[26:27], -v[202:203]
	v_add_f64 v[7:8], v[146:147], v[7:8]
	v_add_f64 v[7:8], v[184:185], v[7:8]
	v_mul_f64 v[184:185], v[233:234], s[50:51]
	v_add_f64 v[7:8], v[15:16], v[7:8]
	v_fma_f64 v[15:16], v[176:177], s[22:23], v[23:24]
	v_add_f64 v[7:8], v[11:12], v[7:8]
	v_fma_f64 v[11:12], v[241:242], s[16:17], v[186:187]
	v_mul_f64 v[186:187], v[233:234], s[44:45]
	v_add_f64 v[11:12], v[144:145], v[11:12]
	v_add_f64 v[9:10], v[9:10], v[11:12]
	v_fma_f64 v[11:12], v[192:193], s[10:11], -v[19:20]
	v_add_f64 v[7:8], v[11:12], v[7:8]
	v_fma_f64 v[11:12], v[225:226], s[34:35], v[13:14]
	v_fma_f64 v[13:14], v[178:179], s[22:23], -v[247:248]
	v_fma_f64 v[247:248], v[241:242], s[10:11], v[186:187]
	v_fma_f64 v[186:187], v[241:242], s[10:11], -v[186:187]
	v_add_f64 v[9:10], v[11:12], v[9:10]
	v_fma_f64 v[11:12], v[206:207], s[2:3], -v[251:252]
	v_add_f64 v[247:248], v[144:145], v[247:248]
	v_add_f64 v[7:8], v[11:12], v[7:8]
	v_fma_f64 v[11:12], v[237:238], s[24:25], v[17:18]
	v_fma_f64 v[17:18], v[196:197], s[36:37], -v[25:26]
	v_mul_f64 v[25:26], v[233:234], s[38:39]
	v_add_f64 v[7:8], v[13:14], v[7:8]
	v_add_f64 v[9:10], v[11:12], v[9:10]
	v_fma_f64 v[11:12], v[229:230], s[10:11], v[21:22]
	v_mul_f64 v[13:14], v[233:234], s[28:29]
	v_mul_f64 v[21:22], v[210:211], s[42:43]
	v_fma_f64 v[202:203], v[241:242], s[36:37], -v[25:26]
	v_fma_f64 v[25:26], v[241:242], s[36:37], v[25:26]
	v_fma_f64 v[233:234], v[241:242], s[34:35], -v[148:149]
	v_fma_f64 v[148:149], v[241:242], s[34:35], v[148:149]
	v_add_f64 v[162:163], v[17:18], v[7:8]
	v_add_f64 v[9:10], v[11:12], v[9:10]
	v_fma_f64 v[11:12], v[190:191], s[2:3], v[253:254]
	v_fma_f64 v[17:18], v[221:222], s[36:37], -v[21:22]
	v_fma_f64 v[21:22], v[221:222], s[36:37], v[21:22]
	v_add_f64 v[253:254], v[3:4], v[32:33]
	v_mul_f64 v[3:4], v[212:213], s[54:55]
	v_add_f64 v[202:203], v[144:145], v[202:203]
	v_add_f64 v[25:26], v[144:145], v[25:26]
	;; [unrolled: 1-line block ×5, first 2 shown]
	v_mul_f64 v[11:12], v[245:246], s[28:29]
	v_add_f64 v[9:10], v[15:16], v[9:10]
	v_mul_f64 v[15:16], v[212:213], s[42:43]
	v_fma_f64 v[19:20], v[243:244], s[24:25], v[11:12]
	v_add_f64 v[160:161], v[5:6], v[9:10]
	v_fma_f64 v[5:6], v[241:242], s[24:25], -v[13:14]
	v_fma_f64 v[7:8], v[223:224], s[36:37], v[15:16]
	v_fma_f64 v[9:10], v[243:244], s[24:25], -v[11:12]
	v_fma_f64 v[11:12], v[241:242], s[24:25], v[13:14]
	v_add_f64 v[13:14], v[146:147], v[19:20]
	v_mul_f64 v[19:20], v[218:219], s[44:45]
	v_fma_f64 v[15:16], v[223:224], s[36:37], -v[15:16]
	v_add_f64 v[5:6], v[144:145], v[5:6]
	v_add_f64 v[9:10], v[146:147], v[9:10]
	;; [unrolled: 1-line block ×4, first 2 shown]
	v_mul_f64 v[13:14], v[216:217], s[44:45]
	v_add_f64 v[5:6], v[17:18], v[5:6]
	v_fma_f64 v[17:18], v[227:228], s[10:11], v[19:20]
	v_add_f64 v[9:10], v[15:16], v[9:10]
	v_mul_f64 v[15:16], v[194:195], s[18:19]
	v_add_f64 v[11:12], v[21:22], v[11:12]
	v_fma_f64 v[21:22], v[225:226], s[10:11], -v[13:14]
	v_fma_f64 v[19:20], v[227:228], s[10:11], -v[19:20]
	v_fma_f64 v[13:14], v[225:226], s[10:11], v[13:14]
	v_add_f64 v[7:8], v[17:18], v[7:8]
	v_mul_f64 v[17:18], v[200:201], s[18:19]
	v_add_f64 v[5:6], v[21:22], v[5:6]
	v_fma_f64 v[21:22], v[239:240], s[16:17], v[15:16]
	v_add_f64 v[9:10], v[19:20], v[9:10]
	v_add_f64 v[11:12], v[13:14], v[11:12]
	v_mul_f64 v[13:14], v[214:215], s[48:49]
	v_fma_f64 v[15:16], v[239:240], s[16:17], -v[15:16]
	v_fma_f64 v[19:20], v[237:238], s[16:17], -v[17:18]
	v_fma_f64 v[17:18], v[237:238], s[16:17], v[17:18]
	v_add_f64 v[7:8], v[21:22], v[7:8]
	v_mul_f64 v[21:22], v[235:236], s[48:49]
	v_add_f64 v[9:10], v[15:16], v[9:10]
	v_mul_f64 v[15:16], v[208:209], s[50:51]
	v_add_f64 v[5:6], v[19:20], v[5:6]
	v_fma_f64 v[19:20], v[192:193], s[34:35], v[13:14]
	v_add_f64 v[11:12], v[17:18], v[11:12]
	v_fma_f64 v[13:14], v[192:193], s[34:35], -v[13:14]
	v_fma_f64 v[17:18], v[229:230], s[34:35], -v[21:22]
	v_fma_f64 v[21:22], v[229:230], s[34:35], v[21:22]
	v_add_f64 v[7:8], v[19:20], v[7:8]
	v_mul_f64 v[19:20], v[231:232], s[50:51]
	v_add_f64 v[9:10], v[13:14], v[9:10]
	v_add_f64 v[5:6], v[17:18], v[5:6]
	v_fma_f64 v[17:18], v[206:207], s[22:23], v[15:16]
	v_add_f64 v[11:12], v[21:22], v[11:12]
	v_mul_f64 v[21:22], v[204:205], s[0:1]
	v_fma_f64 v[15:16], v[206:207], s[22:23], -v[15:16]
	v_fma_f64 v[13:14], v[190:191], s[22:23], -v[19:20]
	v_fma_f64 v[19:20], v[190:191], s[22:23], v[19:20]
	v_add_f64 v[7:8], v[17:18], v[7:8]
	v_mul_f64 v[17:18], v[188:189], s[0:1]
	v_add_f64 v[9:10], v[15:16], v[9:10]
	v_mul_f64 v[15:16], v[198:199], s[30:31]
	v_add_f64 v[5:6], v[13:14], v[5:6]
	v_fma_f64 v[13:14], v[178:179], s[2:3], v[21:22]
	v_add_f64 v[11:12], v[19:20], v[11:12]
	v_fma_f64 v[21:22], v[178:179], s[2:3], -v[21:22]
	v_fma_f64 v[19:20], v[176:177], s[2:3], -v[17:18]
	v_fma_f64 v[17:18], v[176:177], s[2:3], v[17:18]
	v_add_f64 v[7:8], v[13:14], v[7:8]
	v_mul_f64 v[13:14], v[182:183], s[30:31]
	v_add_f64 v[9:10], v[21:22], v[9:10]
	v_add_f64 v[5:6], v[19:20], v[5:6]
	v_fma_f64 v[19:20], v[196:197], s[26:27], v[15:16]
	v_add_f64 v[11:12], v[17:18], v[11:12]
	v_mul_f64 v[17:18], v[245:246], s[38:39]
	v_fma_f64 v[15:16], v[196:197], s[26:27], -v[15:16]
	v_fma_f64 v[21:22], v[180:181], s[26:27], -v[13:14]
	v_fma_f64 v[13:14], v[180:181], s[26:27], v[13:14]
	v_add_f64 v[158:159], v[19:20], v[7:8]
	v_mul_f64 v[7:8], v[245:246], s[52:53]
	v_mul_f64 v[19:20], v[245:246], s[50:51]
	v_fma_f64 v[23:24], v[243:244], s[36:37], v[17:18]
	v_fma_f64 v[17:18], v[243:244], s[36:37], -v[17:18]
	v_add_f64 v[154:155], v[15:16], v[9:10]
	v_add_f64 v[156:157], v[21:22], v[5:6]
	v_mul_f64 v[5:6], v[245:246], s[40:41]
	v_mul_f64 v[21:22], v[245:246], s[44:45]
	v_add_f64 v[152:153], v[13:14], v[11:12]
	v_fma_f64 v[245:246], v[241:242], s[22:23], v[184:185]
	v_fma_f64 v[11:12], v[243:244], s[26:27], v[7:8]
	v_fma_f64 v[7:8], v[243:244], s[26:27], -v[7:8]
	v_fma_f64 v[13:14], v[243:244], s[22:23], -v[19:20]
	v_fma_f64 v[19:20], v[243:244], s[22:23], v[19:20]
	v_fma_f64 v[184:185], v[241:242], s[22:23], -v[184:185]
	v_add_f64 v[17:18], v[146:147], v[17:18]
	v_add_f64 v[23:24], v[146:147], v[23:24]
	v_fma_f64 v[9:10], v[243:244], s[34:35], v[5:6]
	v_fma_f64 v[5:6], v[243:244], s[34:35], -v[5:6]
	v_fma_f64 v[15:16], v[243:244], s[10:11], -v[21:22]
	v_fma_f64 v[21:22], v[243:244], s[10:11], v[21:22]
	v_fma_f64 v[243:244], v[241:242], s[26:27], -v[150:151]
	v_fma_f64 v[150:151], v[241:242], s[26:27], v[150:151]
	v_add_f64 v[251:252], v[146:147], v[7:8]
	v_mul_f64 v[7:8], v[218:219], s[20:21]
	v_add_f64 v[11:12], v[146:147], v[11:12]
	v_add_f64 v[13:14], v[146:147], v[13:14]
	;; [unrolled: 1-line block ×7, first 2 shown]
	v_fma_f64 v[5:6], v[223:224], s[16:17], v[3:4]
	v_fma_f64 v[3:4], v[223:224], s[16:17], -v[3:4]
	v_add_f64 v[243:244], v[144:145], v[243:244]
	v_add_f64 v[150:151], v[144:145], v[150:151]
	;; [unrolled: 1-line block ×7, first 2 shown]
	v_fma_f64 v[17:18], v[227:228], s[22:23], v[7:8]
	v_fma_f64 v[7:8], v[227:228], s[22:23], -v[7:8]
	v_add_f64 v[5:6], v[17:18], v[5:6]
	v_add_f64 v[3:4], v[7:8], v[3:4]
	v_mul_f64 v[7:8], v[194:195], s[52:53]
	v_mul_f64 v[17:18], v[210:211], s[54:55]
	v_fma_f64 v[144:145], v[239:240], s[26:27], v[7:8]
	v_fma_f64 v[23:24], v[221:222], s[16:17], -v[17:18]
	v_fma_f64 v[7:8], v[239:240], s[26:27], -v[7:8]
	v_add_f64 v[5:6], v[144:145], v[5:6]
	v_mul_f64 v[144:145], v[216:217], s[20:21]
	v_add_f64 v[23:24], v[23:24], v[202:203]
	v_add_f64 v[3:4], v[7:8], v[3:4]
	v_mul_f64 v[7:8], v[214:215], s[0:1]
	v_fma_f64 v[186:187], v[225:226], s[22:23], -v[144:145]
	v_add_f64 v[23:24], v[186:187], v[23:24]
	v_fma_f64 v[186:187], v[192:193], s[2:3], v[7:8]
	v_fma_f64 v[7:8], v[192:193], s[2:3], -v[7:8]
	v_add_f64 v[5:6], v[186:187], v[5:6]
	v_mul_f64 v[186:187], v[200:201], s[52:53]
	v_add_f64 v[3:4], v[7:8], v[3:4]
	v_mul_f64 v[7:8], v[208:209], s[48:49]
	v_fma_f64 v[202:203], v[237:238], s[26:27], -v[186:187]
	v_fma_f64 v[186:187], v[237:238], s[26:27], v[186:187]
	v_add_f64 v[23:24], v[202:203], v[23:24]
	v_fma_f64 v[202:203], v[206:207], s[34:35], v[7:8]
	v_fma_f64 v[7:8], v[206:207], s[34:35], -v[7:8]
	v_add_f64 v[5:6], v[202:203], v[5:6]
	v_mul_f64 v[202:203], v[235:236], s[0:1]
	v_add_f64 v[3:4], v[7:8], v[3:4]
	v_fma_f64 v[7:8], v[221:222], s[16:17], v[17:18]
	v_mul_f64 v[17:18], v[204:205], s[44:45]
	v_fma_f64 v[164:165], v[229:230], s[2:3], -v[202:203]
	v_fma_f64 v[202:203], v[229:230], s[2:3], v[202:203]
	v_add_f64 v[7:8], v[7:8], v[25:26]
	v_fma_f64 v[25:26], v[178:179], s[10:11], v[17:18]
	v_fma_f64 v[17:18], v[178:179], s[10:11], -v[17:18]
	v_add_f64 v[23:24], v[164:165], v[23:24]
	v_mul_f64 v[164:165], v[231:232], s[48:49]
	s_mov_b32 s49, 0x3fc7851a
	v_add_f64 v[25:26], v[25:26], v[5:6]
	v_add_f64 v[17:18], v[17:18], v[3:4]
	v_fma_f64 v[3:4], v[225:226], s[22:23], v[144:145]
	v_mul_f64 v[144:145], v[188:189], s[44:45]
	s_mov_b32 s48, s0
	v_fma_f64 v[5:6], v[190:191], s[34:35], -v[164:165]
	v_fma_f64 v[164:165], v[190:191], s[34:35], v[164:165]
	v_add_f64 v[3:4], v[3:4], v[7:8]
	v_fma_f64 v[166:167], v[176:177], s[10:11], -v[144:145]
	v_fma_f64 v[144:145], v[176:177], s[10:11], v[144:145]
	v_add_f64 v[5:6], v[5:6], v[23:24]
	v_mul_f64 v[23:24], v[212:213], s[0:1]
	v_add_f64 v[3:4], v[186:187], v[3:4]
	v_mul_f64 v[186:187], v[218:219], s[42:43]
	v_add_f64 v[32:33], v[166:167], v[5:6]
	v_mul_f64 v[166:167], v[210:211], s[0:1]
	v_fma_f64 v[7:8], v[223:224], s[2:3], v[23:24]
	v_fma_f64 v[23:24], v[223:224], s[2:3], -v[23:24]
	v_add_f64 v[3:4], v[202:203], v[3:4]
	v_fma_f64 v[5:6], v[221:222], s[2:3], -v[166:167]
	v_add_f64 v[8:9], v[7:8], v[9:10]
	v_add_f64 v[23:24], v[23:24], v[241:242]
	v_fma_f64 v[166:167], v[221:222], s[2:3], v[166:167]
	v_add_f64 v[3:4], v[164:165], v[3:4]
	v_mul_f64 v[164:165], v[210:211], s[28:29]
	v_add_f64 v[5:6], v[5:6], v[233:234]
	v_fma_f64 v[233:234], v[227:228], s[36:37], v[186:187]
	v_fma_f64 v[186:187], v[227:228], s[36:37], -v[186:187]
	v_add_f64 v[148:149], v[166:167], v[148:149]
	v_mul_f64 v[166:167], v[212:213], s[28:29]
	v_add_f64 v[144:145], v[144:145], v[3:4]
	v_mul_f64 v[3:4], v[204:205], s[46:47]
	v_add_f64 v[7:8], v[233:234], v[8:9]
	v_add_f64 v[23:24], v[186:187], v[23:24]
	v_mul_f64 v[186:187], v[194:195], s[8:9]
	v_mul_f64 v[9:10], v[216:217], s[42:43]
	v_fma_f64 v[202:203], v[239:240], s[10:11], v[186:187]
	v_fma_f64 v[186:187], v[239:240], s[10:11], -v[186:187]
	v_fma_f64 v[233:234], v[225:226], s[36:37], -v[9:10]
	v_fma_f64 v[9:10], v[225:226], s[36:37], v[9:10]
	v_add_f64 v[7:8], v[202:203], v[7:8]
	v_fma_f64 v[202:203], v[223:224], s[24:25], v[166:167]
	v_add_f64 v[23:24], v[186:187], v[23:24]
	v_mul_f64 v[186:187], v[214:215], s[52:53]
	v_add_f64 v[9:10], v[9:10], v[148:149]
	v_mul_f64 v[148:149], v[218:219], s[48:49]
	v_add_f64 v[5:6], v[233:234], v[5:6]
	v_fma_f64 v[166:167], v[223:224], s[24:25], -v[166:167]
	v_add_f64 v[11:12], v[202:203], v[11:12]
	v_mul_f64 v[202:203], v[200:201], s[8:9]
	v_fma_f64 v[241:242], v[192:193], s[26:27], v[186:187]
	v_fma_f64 v[186:187], v[192:193], s[26:27], -v[186:187]
	v_add_f64 v[166:167], v[166:167], v[251:252]
	v_fma_f64 v[233:234], v[237:238], s[10:11], -v[202:203]
	v_add_f64 v[7:8], v[241:242], v[7:8]
	v_fma_f64 v[241:242], v[227:228], s[2:3], v[148:149]
	v_fma_f64 v[148:149], v[227:228], s[2:3], -v[148:149]
	v_add_f64 v[23:24], v[186:187], v[23:24]
	v_mul_f64 v[186:187], v[208:209], s[18:19]
	v_add_f64 v[5:6], v[233:234], v[5:6]
	v_fma_f64 v[233:234], v[221:222], s[24:25], -v[164:165]
	v_add_f64 v[11:12], v[241:242], v[11:12]
	v_mul_f64 v[241:242], v[235:236], s[52:53]
	v_add_f64 v[148:149], v[148:149], v[166:167]
	v_fma_f64 v[166:167], v[237:238], s[10:11], v[202:203]
	v_fma_f64 v[164:165], v[221:222], s[24:25], v[164:165]
	v_add_f64 v[233:234], v[233:234], v[243:244]
	v_fma_f64 v[243:244], v[229:230], s[26:27], -v[241:242]
	v_add_f64 v[9:10], v[166:167], v[9:10]
	v_mul_f64 v[166:167], v[194:195], s[42:43]
	v_add_f64 v[150:151], v[164:165], v[150:151]
	v_mul_f64 v[164:165], v[200:201], s[42:43]
	;; [unrolled: 2-line block ×3, first 2 shown]
	v_fma_f64 v[202:203], v[239:240], s[36:37], v[166:167]
	v_fma_f64 v[166:167], v[239:240], s[36:37], -v[166:167]
	v_fma_f64 v[251:252], v[225:226], s[2:3], -v[243:244]
	v_add_f64 v[11:12], v[202:203], v[11:12]
	v_add_f64 v[148:149], v[166:167], v[148:149]
	v_fma_f64 v[166:167], v[229:230], s[26:27], v[241:242]
	v_add_f64 v[233:234], v[251:252], v[233:234]
	v_fma_f64 v[251:252], v[206:207], s[16:17], v[186:187]
	v_fma_f64 v[186:187], v[206:207], s[16:17], -v[186:187]
	v_add_f64 v[9:10], v[166:167], v[9:10]
	v_mul_f64 v[166:167], v[214:215], s[20:21]
	v_add_f64 v[7:8], v[251:252], v[7:8]
	v_mul_f64 v[251:252], v[231:232], s[18:19]
	v_add_f64 v[23:24], v[186:187], v[23:24]
	v_fma_f64 v[186:187], v[178:179], s[24:25], v[3:4]
	v_fma_f64 v[3:4], v[178:179], s[24:25], -v[3:4]
	v_fma_f64 v[202:203], v[190:191], s[16:17], -v[251:252]
	v_add_f64 v[7:8], v[186:187], v[7:8]
	v_fma_f64 v[186:187], v[192:193], s[22:23], v[166:167]
	v_add_f64 v[23:24], v[3:4], v[23:24]
	v_fma_f64 v[3:4], v[192:193], s[22:23], -v[166:167]
	v_add_f64 v[5:6], v[202:203], v[5:6]
	v_fma_f64 v[202:203], v[237:238], s[36:37], -v[164:165]
	v_fma_f64 v[164:165], v[237:238], s[36:37], v[164:165]
	v_add_f64 v[11:12], v[186:187], v[11:12]
	v_mul_f64 v[186:187], v[188:189], s[46:47]
	v_add_f64 v[3:4], v[3:4], v[148:149]
	v_fma_f64 v[148:149], v[190:191], s[16:17], v[251:252]
	v_add_f64 v[202:203], v[202:203], v[233:234]
	v_fma_f64 v[233:234], v[176:177], s[24:25], -v[186:187]
	v_fma_f64 v[186:187], v[176:177], s[24:25], v[186:187]
	v_add_f64 v[9:10], v[148:149], v[9:10]
	v_mul_f64 v[148:149], v[208:209], s[44:45]
	v_add_f64 v[233:234], v[233:234], v[5:6]
	v_fma_f64 v[5:6], v[225:226], s[2:3], v[243:244]
	v_fma_f64 v[166:167], v[206:207], s[10:11], v[148:149]
	v_fma_f64 v[148:149], v[206:207], s[10:11], -v[148:149]
	v_add_f64 v[5:6], v[5:6], v[150:151]
	v_mul_f64 v[150:151], v[235:236], s[20:21]
	v_add_f64 v[11:12], v[166:167], v[11:12]
	v_add_f64 v[3:4], v[148:149], v[3:4]
	;; [unrolled: 1-line block ×3, first 2 shown]
	v_fma_f64 v[148:149], v[229:230], s[22:23], v[150:151]
	v_fma_f64 v[241:242], v[229:230], s[22:23], -v[150:151]
	v_mul_f64 v[164:165], v[231:232], s[44:45]
	v_add_f64 v[5:6], v[148:149], v[5:6]
	v_mul_f64 v[148:149], v[212:213], s[40:41]
	v_add_f64 v[202:203], v[241:242], v[202:203]
	v_fma_f64 v[166:167], v[190:191], s[10:11], -v[164:165]
	v_fma_f64 v[164:165], v[190:191], s[10:11], v[164:165]
	v_fma_f64 v[150:151], v[223:224], s[34:35], -v[148:149]
	v_fma_f64 v[148:149], v[223:224], s[34:35], v[148:149]
	v_add_f64 v[166:167], v[166:167], v[202:203]
	v_add_f64 v[164:165], v[164:165], v[5:6]
	;; [unrolled: 1-line block ×3, first 2 shown]
	v_mul_f64 v[150:151], v[212:213], s[50:51]
	v_mul_f64 v[212:213], v[210:211], s[40:41]
	;; [unrolled: 1-line block ×3, first 2 shown]
	v_add_f64 v[19:20], v[148:149], v[19:20]
	v_fma_f64 v[202:203], v[223:224], s[22:23], -v[150:151]
	v_fma_f64 v[150:151], v[223:224], s[22:23], v[150:151]
	v_fma_f64 v[223:224], v[221:222], s[34:35], v[212:213]
	v_fma_f64 v[212:213], v[221:222], s[34:35], -v[212:213]
	v_fma_f64 v[241:242], v[221:222], s[22:23], v[210:211]
	v_fma_f64 v[210:211], v[221:222], s[22:23], -v[210:211]
	v_add_f64 v[15:16], v[202:203], v[15:16]
	v_add_f64 v[21:22], v[150:151], v[21:22]
	v_mul_f64 v[150:151], v[216:217], s[28:29]
	v_add_f64 v[221:222], v[223:224], v[245:246]
	v_add_f64 v[148:149], v[212:213], v[184:185]
	v_mul_f64 v[184:185], v[218:219], s[28:29]
	v_mul_f64 v[216:217], v[216:217], s[52:53]
	v_add_f64 v[202:203], v[241:242], v[247:248]
	v_add_f64 v[146:147], v[210:211], v[146:147]
	v_mov_b32_e32 v248, v0
	v_mov_b32_e32 v247, v31
	v_fma_f64 v[223:224], v[225:226], s[24:25], v[150:151]
	v_fma_f64 v[150:151], v[225:226], s[24:25], -v[150:151]
	v_fma_f64 v[212:213], v[227:228], s[24:25], -v[184:185]
	v_fma_f64 v[184:185], v[227:228], s[24:25], v[184:185]
	v_add_f64 v[210:211], v[223:224], v[221:222]
	v_add_f64 v[148:149], v[150:151], v[148:149]
	v_mul_f64 v[150:151], v[194:195], s[0:1]
	v_add_f64 v[13:14], v[212:213], v[13:14]
	v_mul_f64 v[212:213], v[218:219], s[52:53]
	;; [unrolled: 2-line block ×3, first 2 shown]
	v_fma_f64 v[184:185], v[239:240], s[2:3], -v[150:151]
	v_fma_f64 v[150:151], v[239:240], s[2:3], v[150:151]
	v_fma_f64 v[218:219], v[227:228], s[26:27], -v[212:213]
	v_fma_f64 v[212:213], v[227:228], s[26:27], v[212:213]
	v_fma_f64 v[227:228], v[225:226], s[26:27], v[216:217]
	v_fma_f64 v[216:217], v[225:226], s[26:27], -v[216:217]
	v_add_f64 v[13:14], v[184:185], v[13:14]
	v_mul_f64 v[184:185], v[194:195], s[40:41]
	v_add_f64 v[15:16], v[218:219], v[15:16]
	v_add_f64 v[21:22], v[212:213], v[21:22]
	v_mul_f64 v[212:213], v[200:201], s[0:1]
	v_mul_f64 v[200:201], v[200:201], s[40:41]
	v_add_f64 v[202:203], v[227:228], v[202:203]
	v_add_f64 v[146:147], v[216:217], v[146:147]
	;; [unrolled: 1-line block ×3, first 2 shown]
	v_mul_f64 v[150:151], v[208:209], s[42:43]
	v_mul_f64 v[208:209], v[208:209], s[28:29]
	v_fma_f64 v[194:195], v[239:240], s[34:35], -v[184:185]
	v_fma_f64 v[184:185], v[239:240], s[34:35], v[184:185]
	v_fma_f64 v[218:219], v[237:238], s[2:3], v[212:213]
	;; [unrolled: 1-line block ×3, first 2 shown]
	v_fma_f64 v[212:213], v[237:238], s[2:3], -v[212:213]
	v_fma_f64 v[200:201], v[237:238], s[34:35], -v[200:201]
	v_mul_f64 v[237:238], v[182:183], s[0:1]
	v_fma_f64 v[225:226], v[206:207], s[36:37], -v[150:151]
	v_fma_f64 v[150:151], v[206:207], s[36:37], v[150:151]
	v_add_f64 v[15:16], v[194:195], v[15:16]
	v_mul_f64 v[194:195], v[214:215], s[54:55]
	v_mul_f64 v[214:215], v[214:215], s[38:39]
	v_add_f64 v[210:211], v[218:219], v[210:211]
	v_add_f64 v[202:203], v[221:222], v[202:203]
	v_mul_f64 v[218:219], v[235:236], s[38:39]
	v_mul_f64 v[221:222], v[235:236], s[54:55]
	v_add_f64 v[148:149], v[212:213], v[148:149]
	v_add_f64 v[21:22], v[184:185], v[21:22]
	v_mul_f64 v[184:185], v[231:232], s[42:43]
	v_add_f64 v[146:147], v[200:201], v[146:147]
	v_mul_f64 v[200:201], v[204:205], s[40:41]
	v_mul_f64 v[231:232], v[182:183], s[18:19]
	v_fma_f64 v[216:217], v[192:193], s[16:17], -v[194:195]
	v_fma_f64 v[212:213], v[192:193], s[36:37], -v[214:215]
	v_fma_f64 v[194:195], v[192:193], s[16:17], v[194:195]
	v_fma_f64 v[192:193], v[192:193], s[36:37], v[214:215]
	v_fma_f64 v[214:215], v[229:230], s[16:17], v[221:222]
	v_fma_f64 v[221:222], v[229:230], s[16:17], -v[221:222]
	v_fma_f64 v[243:244], v[180:181], s[16:17], v[231:232]
	v_add_f64 v[13:14], v[216:217], v[13:14]
	v_fma_f64 v[216:217], v[229:230], s[36:37], v[218:219]
	v_fma_f64 v[218:219], v[229:230], s[36:37], -v[218:219]
	v_add_f64 v[15:16], v[212:213], v[15:16]
	v_mul_f64 v[212:213], v[204:205], s[30:31]
	v_add_f64 v[210:211], v[214:215], v[210:211]
	v_fma_f64 v[214:215], v[206:207], s[24:25], -v[208:209]
	v_add_f64 v[19:20], v[194:195], v[19:20]
	v_fma_f64 v[194:195], v[190:191], s[24:25], v[223:224]
	v_add_f64 v[148:149], v[221:222], v[148:149]
	v_fma_f64 v[221:222], v[190:191], s[36:37], v[184:185]
	v_fma_f64 v[206:207], v[206:207], s[24:25], v[208:209]
	v_mul_f64 v[204:205], v[204:205], s[18:19]
	v_add_f64 v[21:22], v[192:193], v[21:22]
	v_mul_f64 v[192:193], v[188:189], s[18:19]
	v_fma_f64 v[184:185], v[190:191], s[36:37], -v[184:185]
	v_fma_f64 v[190:191], v[190:191], s[24:25], -v[223:224]
	v_mul_f64 v[229:230], v[198:199], s[18:19]
	v_mul_f64 v[208:209], v[188:189], s[40:41]
	;; [unrolled: 1-line block ×3, first 2 shown]
	v_add_f64 v[13:14], v[225:226], v[13:14]
	v_add_f64 v[202:203], v[216:217], v[202:203]
	v_mul_f64 v[216:217], v[198:199], s[28:29]
	v_fma_f64 v[225:226], v[178:179], s[34:35], -v[200:201]
	v_fma_f64 v[223:224], v[178:179], s[26:27], -v[212:213]
	v_add_f64 v[146:147], v[218:219], v[146:147]
	v_add_f64 v[15:16], v[214:215], v[15:16]
	v_mul_f64 v[214:215], v[182:183], s[28:29]
	v_fma_f64 v[200:201], v[178:179], s[34:35], v[200:201]
	v_add_f64 v[19:20], v[150:151], v[19:20]
	v_fma_f64 v[227:228], v[178:179], s[26:27], v[212:213]
	v_add_f64 v[210:211], v[221:222], v[210:211]
	v_fma_f64 v[150:151], v[178:179], s[16:17], -v[204:205]
	v_fma_f64 v[178:179], v[178:179], s[16:17], v[204:205]
	v_add_f64 v[21:22], v[206:207], v[21:22]
	v_add_f64 v[184:185], v[184:185], v[148:149]
	v_fma_f64 v[148:149], v[176:177], s[16:17], v[192:193]
	v_mul_f64 v[204:205], v[198:199], s[8:9]
	v_fma_f64 v[221:222], v[176:177], s[34:35], -v[208:209]
	v_fma_f64 v[208:209], v[176:177], s[34:35], v[208:209]
	v_add_f64 v[194:195], v[194:195], v[202:203]
	v_fma_f64 v[218:219], v[196:197], s[24:25], v[216:217]
	v_add_f64 v[235:236], v[225:226], v[3:4]
	v_add_f64 v[13:14], v[223:224], v[13:14]
	v_mul_f64 v[202:203], v[198:199], s[20:21]
	v_fma_f64 v[225:226], v[176:177], s[26:27], v[188:189]
	v_fma_f64 v[223:224], v[180:181], s[24:25], -v[214:215]
	v_mul_f64 v[198:199], v[198:199], s[0:1]
	v_fma_f64 v[188:189], v[176:177], s[26:27], -v[188:189]
	v_fma_f64 v[176:177], v[176:177], s[16:17], -v[192:193]
	v_mul_f64 v[192:193], v[182:183], s[8:9]
	v_fma_f64 v[216:217], v[196:197], s[24:25], -v[216:217]
	v_mul_f64 v[182:183], v[182:183], s[20:21]
	v_add_f64 v[15:16], v[150:151], v[15:16]
	v_fma_f64 v[245:246], v[196:197], s[10:11], -v[204:205]
	v_add_f64 v[212:213], v[221:222], v[166:167]
	v_add_f64 v[164:165], v[208:209], v[164:165]
	v_fma_f64 v[204:205], v[196:197], s[10:11], v[204:205]
	v_add_f64 v[239:240], v[148:149], v[194:195]
	v_add_f64 v[4:5], v[218:219], v[25:26]
	;; [unrolled: 1-line block ×3, first 2 shown]
	v_fma_f64 v[190:191], v[196:197], s[16:17], -v[229:230]
	v_add_f64 v[194:195], v[178:179], v[21:22]
	v_add_f64 v[241:242], v[225:226], v[210:211]
	;; [unrolled: 1-line block ×3, first 2 shown]
	v_fma_f64 v[9:10], v[196:197], s[2:3], -v[198:199]
	v_add_f64 v[210:211], v[200:201], v[11:12]
	v_fma_f64 v[11:12], v[180:181], s[2:3], v[237:238]
	v_fma_f64 v[166:167], v[180:181], s[10:11], v[192:193]
	v_add_f64 v[146:147], v[216:217], v[17:18]
	v_fma_f64 v[17:18], v[196:197], s[22:23], -v[202:203]
	v_add_f64 v[200:201], v[227:228], v[19:20]
	v_fma_f64 v[227:228], v[180:181], s[22:23], v[182:183]
	v_fma_f64 v[225:226], v[180:181], s[24:25], v[214:215]
	v_add_f64 v[208:209], v[188:189], v[184:185]
	v_add_f64 v[188:189], v[253:254], v[27:28]
	v_fma_f64 v[218:219], v[196:197], s[22:23], v[202:203]
	v_fma_f64 v[221:222], v[180:181], s[22:23], -v[182:183]
	v_fma_f64 v[214:215], v[196:197], s[16:17], v[229:230]
	v_fma_f64 v[216:217], v[180:181], s[16:17], -v[231:232]
	v_fma_f64 v[206:207], v[180:181], s[10:11], -v[192:193]
	v_fma_f64 v[192:193], v[196:197], s[2:3], v[198:199]
	v_fma_f64 v[196:197], v[180:181], s[2:3], -v[237:238]
	v_add_f64 v[178:179], v[190:191], v[235:236]
	v_add_f64 v[190:191], v[1:2], v[29:30]
	;; [unrolled: 1-line block ×3, first 2 shown]
	s_clause 0x2
	buffer_load_dword v223, off, s[60:63], 0 offset:144
	buffer_load_dword v224, off, s[60:63], 0 offset:148
	;; [unrolled: 1-line block ×3, first 2 shown]
	v_add_f64 v[186:187], v[9:10], v[15:16]
	v_add_f64 v[184:185], v[11:12], v[239:240]
	;; [unrolled: 1-line block ×9, first 2 shown]
	v_mul_lo_u16 v1, v248, 17
	v_add_f64 v[8:9], v[218:219], v[7:8]
	v_add_f64 v[6:7], v[221:222], v[233:234]
	;; [unrolled: 1-line block ×4, first 2 shown]
	v_and_b32_e32 v1, 0xffff, v1
	v_add_f64 v[16:17], v[204:205], v[200:201]
	v_add_f64 v[14:15], v[206:207], v[208:209]
	;; [unrolled: 1-line block ×3, first 2 shown]
	v_add_nc_u32_e32 v219, 0x550, v249
	v_add_nc_u32_e32 v218, 0xaa0, v249
	v_add_f64 v[18:19], v[196:197], v[198:199]
	s_waitcnt vmcnt(0)
	v_lshl_add_u32 v1, v1, 4, v0
	ds_write_b128 v1, v[188:191]
	ds_write_b128 v1, v[184:187] offset:16
	ds_write_b128 v1, v[180:183] offset:32
	;; [unrolled: 1-line block ×8, first 2 shown]
	s_clause 0x3
	buffer_load_dword v22, off, s[60:63], 0 offset:160
	buffer_load_dword v23, off, s[60:63], 0 offset:164
	;; [unrolled: 1-line block ×4, first 2 shown]
	s_waitcnt vmcnt(0)
	ds_write_b128 v1, v[22:25] offset:144
	ds_write_b128 v1, v[172:175] offset:160
	;; [unrolled: 1-line block ×8, first 2 shown]
.LBB0_13:
	s_or_b32 exec_lo, exec_lo, s33
	s_waitcnt lgkmcnt(0)
	s_waitcnt_vscnt null, 0x0
	s_barrier
	buffer_gl0_inv
	ds_read_b128 v[1:4], v250 offset:6800
	ds_read_b128 v[5:8], v250 offset:13600
	;; [unrolled: 1-line block ×7, first 2 shown]
	ds_read_b128 v[152:155], v250
	ds_read_b128 v[156:159], v250 offset:1360
	ds_read_b128 v[160:163], v250 offset:17680
	ds_read_b128 v[164:167], v250 offset:5440
	ds_read_b128 v[168:171], v250 offset:12240
	ds_read_b128 v[172:175], v250 offset:19040
	ds_read_b128 v[176:179], v250 offset:2720
	ds_read_b128 v[180:183], v250 offset:4080
	s_clause 0xb
	buffer_load_dword v27, off, s[60:63], 0 offset:16
	buffer_load_dword v28, off, s[60:63], 0 offset:20
	;; [unrolled: 1-line block ×12, first 2 shown]
	s_mov_b32 s0, 0xe8584caa
	s_mov_b32 s1, 0xbfebb67a
	s_mov_b32 s3, 0x3febb67a
	s_waitcnt lgkmcnt(14)
	v_mul_f64 v[21:22], v[38:39], v[3:4]
	s_waitcnt lgkmcnt(13)
	v_mul_f64 v[23:24], v[42:43], v[7:8]
	v_mul_f64 v[25:26], v[38:39], v[1:2]
	;; [unrolled: 1-line block ×3, first 2 shown]
	s_waitcnt lgkmcnt(11)
	v_mul_f64 v[184:185], v[50:51], v[15:16]
	v_mul_f64 v[50:51], v[50:51], v[13:14]
	;; [unrolled: 1-line block ×4, first 2 shown]
	s_mov_b32 s2, s0
	s_mov_b32 s8, 0x134454ff
	s_mov_b32 s9, 0xbfee6f0e
	s_mov_b32 s17, 0x3fee6f0e
	s_mov_b32 s16, s8
	s_mov_b32 s11, 0x3fe2cf23
	v_fma_f64 v[1:2], v[36:37], v[1:2], v[21:22]
	v_fma_f64 v[5:6], v[40:41], v[5:6], v[23:24]
	v_fma_f64 v[3:4], v[36:37], v[3:4], -v[25:26]
	v_fma_f64 v[7:8], v[40:41], v[7:8], -v[38:39]
	v_fma_f64 v[13:14], v[48:49], v[13:14], v[184:185]
	v_fma_f64 v[23:24], v[48:49], v[15:16], -v[50:51]
	v_fma_f64 v[9:10], v[44:45], v[9:10], v[42:43]
	v_fma_f64 v[11:12], v[44:45], v[11:12], -v[46:47]
	s_waitcnt lgkmcnt(7)
	v_add_f64 v[40:41], v[152:153], v[1:2]
	v_add_f64 v[47:48], v[3:4], -v[7:8]
	v_add_f64 v[45:46], v[9:10], v[13:14]
	s_waitcnt vmcnt(8)
	v_mul_f64 v[186:187], v[29:30], v[19:20]
	s_waitcnt vmcnt(4)
	v_mul_f64 v[188:189], v[208:209], v[146:147]
	v_mul_f64 v[190:191], v[29:30], v[17:18]
	;; [unrolled: 1-line block ×3, first 2 shown]
	s_waitcnt vmcnt(0)
	v_mul_f64 v[194:195], v[214:215], v[150:151]
	v_mul_f64 v[30:31], v[214:215], v[148:149]
	s_clause 0xb
	buffer_load_dword v208, off, s[60:63], 0 offset:64
	buffer_load_dword v209, off, s[60:63], 0 offset:68
	;; [unrolled: 1-line block ×12, first 2 shown]
	s_waitcnt vmcnt(0) lgkmcnt(0)
	s_barrier
	buffer_gl0_inv
	buffer_load_dword v0, off, s[60:63], 0 offset:120 ; 4-byte Folded Reload
	v_fma_f64 v[15:16], v[27:28], v[17:18], v[186:187]
	v_fma_f64 v[25:26], v[206:207], v[144:145], v[188:189]
	v_fma_f64 v[17:18], v[27:28], v[19:20], -v[190:191]
	v_fma_f64 v[36:37], v[206:207], v[146:147], -v[192:193]
	v_fma_f64 v[19:20], v[212:213], v[148:149], v[194:195]
	v_fma_f64 v[21:22], v[212:213], v[150:151], -v[30:31]
	v_add_f64 v[148:149], v[1:2], -v[5:6]
	v_add_f64 v[144:145], v[11:12], v[23:24]
	v_add_f64 v[150:151], v[156:157], v[9:10]
	v_fma_f64 v[144:145], v[144:145], -0.5, v[158:159]
	v_mul_f64 v[196:197], v[210:211], v[162:163]
	v_mul_f64 v[200:201], v[34:35], v[170:171]
	;; [unrolled: 1-line block ×6, first 2 shown]
	v_fma_f64 v[38:39], v[208:209], v[160:161], v[196:197]
	v_fma_f64 v[27:28], v[32:33], v[168:169], v[200:201]
	v_fma_f64 v[29:30], v[32:33], v[170:171], -v[202:203]
	v_fma_f64 v[146:147], v[214:215], v[174:175], -v[34:35]
	v_add_f64 v[31:32], v[1:2], v[5:6]
	v_add_f64 v[33:34], v[3:4], v[7:8]
	;; [unrolled: 1-line block ×4, first 2 shown]
	v_fma_f64 v[43:44], v[208:209], v[162:163], -v[198:199]
	v_add_f64 v[160:161], v[11:12], -v[23:24]
	v_add_f64 v[162:163], v[158:159], v[11:12]
	v_add_f64 v[11:12], v[17:18], v[36:37]
	v_add_f64 v[168:169], v[9:10], -v[13:14]
	v_add_f64 v[170:171], v[176:177], v[15:16]
	v_add_f64 v[174:175], v[178:179], v[17:18]
	v_fma_f64 v[49:50], v[214:215], v[172:173], v[204:205]
	v_add_f64 v[172:173], v[17:18], -v[36:37]
	v_add_f64 v[9:10], v[19:20], v[38:39]
	v_add_f64 v[158:159], v[19:20], -v[38:39]
	v_add_f64 v[188:189], v[164:165], v[27:28]
	v_add_f64 v[186:187], v[29:30], v[146:147]
	v_fma_f64 v[31:32], v[31:32], -0.5, v[152:153]
	v_add_f64 v[152:153], v[15:16], -v[25:26]
	v_fma_f64 v[15:16], v[33:34], -0.5, v[154:155]
	v_fma_f64 v[176:177], v[1:2], -0.5, v[176:177]
	v_add_f64 v[1:2], v[40:41], v[5:6]
	v_add_f64 v[3:4], v[3:4], v[7:8]
	;; [unrolled: 1-line block ×3, first 2 shown]
	v_fma_f64 v[178:179], v[11:12], -0.5, v[178:179]
	v_add_f64 v[5:6], v[150:151], v[13:14]
	v_add_f64 v[17:18], v[21:22], v[43:44]
	v_fma_f64 v[33:34], v[45:46], -0.5, v[156:157]
	v_add_f64 v[7:8], v[162:163], v[23:24]
	v_fma_f64 v[19:20], v[168:169], s[2:3], v[144:145]
	v_add_f64 v[45:46], v[21:22], -v[43:44]
	v_add_f64 v[156:157], v[182:183], v[21:22]
	v_fma_f64 v[23:24], v[168:169], s[0:1], v[144:145]
	v_add_f64 v[184:185], v[27:28], v[49:50]
	v_add_f64 v[194:195], v[27:28], -v[49:50]
	v_fma_f64 v[180:181], v[9:10], -0.5, v[180:181]
	v_add_f64 v[25:26], v[170:171], v[25:26]
	v_add_f64 v[27:28], v[174:175], v[36:37]
	v_add_f64 v[190:191], v[29:30], -v[146:147]
	v_fma_f64 v[9:10], v[47:48], s[0:1], v[31:32]
	v_fma_f64 v[13:14], v[47:48], s[2:3], v[31:32]
	;; [unrolled: 1-line block ×4, first 2 shown]
	v_add_f64 v[192:193], v[166:167], v[29:30]
	v_fma_f64 v[29:30], v[172:173], s[0:1], v[176:177]
	s_waitcnt vmcnt(0)
	ds_write_b128 v0, v[1:4]
	ds_write_b128 v0, v[9:12] offset:272
	ds_write_b128 v0, v[13:16] offset:544
	buffer_load_dword v0, off, s[60:63], 0 offset:128 ; 4-byte Folded Reload
	v_fma_f64 v[150:151], v[17:18], -0.5, v[182:183]
	v_fma_f64 v[17:18], v[160:161], s[0:1], v[33:34]
	v_fma_f64 v[21:22], v[160:161], s[2:3], v[33:34]
	;; [unrolled: 1-line block ×5, first 2 shown]
	v_add_f64 v[37:38], v[154:155], v[38:39]
	v_add_f64 v[39:40], v[156:157], v[43:44]
	v_fma_f64 v[41:42], v[45:46], s[0:1], v[180:181]
	v_fma_f64 v[45:46], v[45:46], s[2:3], v[180:181]
	v_fma_f64 v[164:165], v[184:185], -0.5, v[164:165]
	v_fma_f64 v[166:167], v[186:187], -0.5, v[166:167]
	v_add_f64 v[144:145], v[188:189], v[49:50]
	v_add_f64 v[146:147], v[192:193], v[146:147]
	s_waitcnt vmcnt(0)
	ds_write_b128 v0, v[5:8]
	ds_write_b128 v0, v[17:20] offset:272
	ds_write_b128 v0, v[21:24] offset:544
	buffer_load_dword v0, off, s[60:63], 0 offset:124 ; 4-byte Folded Reload
	v_fma_f64 v[43:44], v[158:159], s[2:3], v[150:151]
	v_fma_f64 v[47:48], v[158:159], s[0:1], v[150:151]
	;; [unrolled: 1-line block ×6, first 2 shown]
	s_mov_b32 s2, 0x4755a5e
	s_mov_b32 s3, 0xbfe2cf23
	;; [unrolled: 1-line block ×5, first 2 shown]
	s_waitcnt vmcnt(0)
	ds_write_b128 v0, v[25:28]
	ds_write_b128 v0, v[29:32] offset:272
	ds_write_b128 v0, v[33:36] offset:544
	buffer_load_dword v0, off, s[60:63], 0 offset:116 ; 4-byte Folded Reload
	s_waitcnt vmcnt(0)
	ds_write_b128 v0, v[37:40]
	ds_write_b128 v0, v[41:44] offset:272
	ds_write_b128 v0, v[45:48] offset:544
	buffer_load_dword v0, off, s[60:63], 0 offset:112 ; 4-byte Folded Reload
	s_waitcnt vmcnt(0)
	ds_write_b128 v0, v[144:147]
	ds_write_b128 v0, v[148:151] offset:272
	ds_write_b128 v0, v[152:155] offset:544
	s_waitcnt lgkmcnt(0)
	s_barrier
	buffer_gl0_inv
	ds_read_b128 v[1:4], v250 offset:8160
	ds_read_b128 v[5:8], v250 offset:12240
	;; [unrolled: 1-line block ×8, first 2 shown]
	s_clause 0x3
	buffer_load_dword v144, off, s[60:63], 0
	buffer_load_dword v145, off, s[60:63], 0 offset:4
	buffer_load_dword v146, off, s[60:63], 0 offset:8
	;; [unrolled: 1-line block ×3, first 2 shown]
	s_waitcnt lgkmcnt(7)
	v_mul_f64 v[33:34], v[70:71], v[3:4]
	s_waitcnt lgkmcnt(6)
	v_mul_f64 v[35:36], v[74:75], v[7:8]
	v_mul_f64 v[41:42], v[70:71], v[1:2]
	s_waitcnt lgkmcnt(4)
	v_mul_f64 v[39:40], v[66:67], v[15:16]
	v_mul_f64 v[43:44], v[74:75], v[5:6]
	;; [unrolled: 1-line block ×3, first 2 shown]
	s_waitcnt lgkmcnt(2)
	v_mul_f64 v[154:155], v[98:99], v[23:24]
	v_mul_f64 v[98:99], v[98:99], v[21:22]
	s_waitcnt lgkmcnt(1)
	v_mul_f64 v[158:159], v[90:91], v[27:28]
	v_mul_f64 v[90:91], v[90:91], v[25:26]
	v_fma_f64 v[49:50], v[68:69], v[1:2], v[33:34]
	v_fma_f64 v[66:67], v[72:73], v[5:6], v[35:36]
	v_fma_f64 v[68:69], v[68:69], v[3:4], -v[41:42]
	v_fma_f64 v[74:75], v[64:65], v[13:14], v[39:40]
	v_fma_f64 v[72:73], v[72:73], v[7:8], -v[43:44]
	ds_read_b128 v[33:36], v250 offset:13600
	ds_read_b128 v[5:8], v250 offset:6800
	;; [unrolled: 1-line block ×3, first 2 shown]
	v_fma_f64 v[47:48], v[64:65], v[15:16], -v[47:48]
	v_fma_f64 v[21:22], v[96:97], v[21:22], v[154:155]
	v_fma_f64 v[23:24], v[96:97], v[23:24], -v[98:99]
	v_fma_f64 v[25:26], v[88:89], v[25:26], v[158:159]
	v_fma_f64 v[27:28], v[88:89], v[27:28], -v[90:91]
	v_add_f64 v[64:65], v[49:50], v[66:67]
	s_waitcnt lgkmcnt(2)
	v_mul_f64 v[148:149], v[102:103], v[35:36]
	v_add_f64 v[152:153], v[68:69], v[72:73]
	v_mul_f64 v[102:103], v[102:103], v[33:34]
	s_waitcnt lgkmcnt(1)
	v_mul_f64 v[156:157], v[94:95], v[7:8]
	v_add_f64 v[166:167], v[68:69], -v[72:73]
	v_mul_f64 v[94:95], v[94:95], v[5:6]
	v_add_f64 v[154:155], v[47:48], -v[72:73]
	v_fma_f64 v[33:34], v[100:101], v[33:34], v[148:149]
	v_fma_f64 v[35:36], v[100:101], v[35:36], -v[102:103]
	s_waitcnt vmcnt(0)
	v_mul_f64 v[37:38], v[146:147], v[11:12]
	v_mul_f64 v[45:46], v[146:147], v[9:10]
	;; [unrolled: 1-line block ×4, first 2 shown]
	v_fma_f64 v[70:71], v[144:145], v[9:10], v[37:38]
	v_fma_f64 v[45:46], v[144:145], v[11:12], -v[45:46]
	ds_read_b128 v[9:12], v250
	s_waitcnt lgkmcnt(1)
	v_mul_f64 v[150:151], v[54:55], v[3:4]
	v_mul_f64 v[54:55], v[54:55], v[1:2]
	v_fma_f64 v[19:20], v[56:57], v[19:20], -v[58:59]
	ds_read_b128 v[37:40], v250 offset:14960
	ds_read_b128 v[13:16], v250 offset:1360
	;; [unrolled: 1-line block ×3, first 2 shown]
	s_waitcnt lgkmcnt(0)
	s_barrier
	buffer_gl0_inv
	v_add_f64 v[144:145], v[70:71], v[74:75]
	v_add_f64 v[162:163], v[9:10], v[70:71]
	v_add_f64 v[164:165], v[45:46], -v[47:48]
	v_fma_f64 v[64:65], v[64:65], -0.5, v[9:10]
	v_add_f64 v[148:149], v[70:71], -v[74:75]
	v_mul_f64 v[160:161], v[86:87], v[39:40]
	v_mul_f64 v[86:87], v[86:87], v[37:38]
	v_fma_f64 v[9:10], v[144:145], -0.5, v[9:10]
	v_fma_f64 v[144:145], v[56:57], v[17:18], v[146:147]
	v_fma_f64 v[146:147], v[52:53], v[1:2], v[150:151]
	v_add_f64 v[1:2], v[11:12], v[45:46]
	v_fma_f64 v[150:151], v[152:153], -0.5, v[11:12]
	v_fma_f64 v[51:52], v[52:53], v[3:4], -v[54:55]
	v_add_f64 v[3:4], v[70:71], -v[49:50]
	v_add_f64 v[53:54], v[45:46], v[47:48]
	v_add_f64 v[55:56], v[74:75], -v[66:67]
	v_add_f64 v[57:58], v[49:50], -v[70:71]
	;; [unrolled: 1-line block ×3, first 2 shown]
	v_add_f64 v[96:97], v[162:163], v[49:50]
	v_mul_f64 v[17:18], v[82:83], v[43:44]
	v_mul_f64 v[82:83], v[82:83], v[41:42]
	v_fma_f64 v[98:99], v[164:165], s[8:9], v[64:65]
	v_fma_f64 v[64:65], v[164:165], s[16:17], v[64:65]
	v_fma_f64 v[152:153], v[92:93], v[5:6], v[156:157]
	v_add_f64 v[5:6], v[49:50], -v[66:67]
	v_add_f64 v[49:50], v[45:46], -v[68:69]
	v_fma_f64 v[92:93], v[92:93], v[7:8], -v[94:95]
	v_fma_f64 v[37:38], v[84:85], v[37:38], v[160:161]
	v_fma_f64 v[39:40], v[84:85], v[39:40], -v[86:87]
	v_fma_f64 v[100:101], v[166:167], s[16:17], v[9:10]
	v_fma_f64 v[9:10], v[166:167], s[8:9], v[9:10]
	v_add_f64 v[88:89], v[13:14], v[146:147]
	v_add_f64 v[1:2], v[1:2], v[68:69]
	v_fma_f64 v[156:157], v[148:149], s[16:17], v[150:151]
	v_fma_f64 v[90:91], v[148:149], s[8:9], v[150:151]
	v_add_f64 v[102:103], v[144:145], v[33:34]
	v_fma_f64 v[11:12], v[53:54], -0.5, v[11:12]
	v_add_f64 v[3:4], v[3:4], v[55:56]
	v_add_f64 v[7:8], v[146:147], v[21:22]
	v_add_f64 v[55:56], v[57:58], v[70:71]
	v_add_f64 v[57:58], v[96:97], v[66:67]
	v_fma_f64 v[41:42], v[80:81], v[41:42], v[17:18]
	v_fma_f64 v[43:44], v[80:81], v[43:44], -v[82:83]
	v_fma_f64 v[66:67], v[166:167], s[2:3], v[98:99]
	v_fma_f64 v[64:65], v[166:167], s[10:11], v[64:65]
	v_add_f64 v[45:46], v[68:69], -v[45:46]
	v_add_f64 v[68:69], v[72:73], -v[47:48]
	v_add_f64 v[49:50], v[49:50], v[154:155]
	v_add_f64 v[82:83], v[19:20], v[35:36]
	v_add_f64 v[53:54], v[51:52], -v[23:24]
	v_add_f64 v[98:99], v[19:20], -v[35:36]
	v_fma_f64 v[70:71], v[164:165], s[2:3], v[100:101]
	v_fma_f64 v[94:95], v[164:165], s[10:11], v[9:10]
	v_add_f64 v[88:89], v[88:89], v[144:145]
	v_add_f64 v[84:85], v[1:2], v[72:73]
	v_fma_f64 v[86:87], v[5:6], s[10:11], v[156:157]
	v_fma_f64 v[72:73], v[5:6], s[2:3], v[90:91]
	v_fma_f64 v[96:97], v[102:103], -0.5, v[13:14]
	v_fma_f64 v[80:81], v[5:6], s[8:9], v[11:12]
	v_fma_f64 v[90:91], v[5:6], s[16:17], v[11:12]
	v_fma_f64 v[100:101], v[7:8], -0.5, v[13:14]
	v_add_f64 v[102:103], v[27:28], -v[39:40]
	v_add_f64 v[1:2], v[57:58], v[74:75]
	v_add_f64 v[57:58], v[51:52], v[23:24]
	v_add_f64 v[154:155], v[152:153], -v[25:26]
	v_fma_f64 v[5:6], v[3:4], s[0:1], v[66:67]
	v_fma_f64 v[9:10], v[3:4], s[0:1], v[64:65]
	v_add_f64 v[64:65], v[146:147], -v[144:145]
	v_add_f64 v[66:67], v[21:22], -v[33:34]
	v_add_f64 v[45:46], v[45:46], v[68:69]
	v_add_f64 v[68:69], v[15:16], v[51:52]
	v_add_f64 v[162:163], v[92:93], -v[27:28]
	v_add_f64 v[156:157], v[41:42], -v[37:38]
	v_fma_f64 v[13:14], v[55:56], s[0:1], v[70:71]
	v_fma_f64 v[17:18], v[55:56], s[0:1], v[94:95]
	v_add_f64 v[94:95], v[33:34], -v[21:22]
	v_add_f64 v[3:4], v[84:85], v[47:48]
	v_add_f64 v[47:48], v[25:26], v[37:38]
	v_fma_f64 v[7:8], v[49:50], s[0:1], v[86:87]
	v_add_f64 v[86:87], v[152:153], v[41:42]
	v_fma_f64 v[11:12], v[49:50], s[0:1], v[72:73]
	v_fma_f64 v[49:50], v[148:149], s[10:11], v[80:81]
	v_fma_f64 v[80:81], v[82:83], -0.5, v[15:16]
	v_add_f64 v[88:89], v[88:89], v[33:34]
	v_add_f64 v[33:34], v[144:145], -v[33:34]
	v_fma_f64 v[15:16], v[57:58], -0.5, v[15:16]
	v_fma_f64 v[55:56], v[53:54], s[8:9], v[96:97]
	v_fma_f64 v[70:71], v[53:54], s[16:17], v[96:97]
	;; [unrolled: 1-line block ×3, first 2 shown]
	v_add_f64 v[84:85], v[144:145], -v[146:147]
	v_add_f64 v[72:73], v[27:28], v[39:40]
	v_add_f64 v[82:83], v[92:93], v[43:44]
	v_add_f64 v[96:97], v[146:147], -v[21:22]
	v_fma_f64 v[90:91], v[148:149], s[2:3], v[90:91]
	v_add_f64 v[57:58], v[64:65], v[66:67]
	v_add_f64 v[64:65], v[29:30], v[152:153]
	;; [unrolled: 1-line block ×3, first 2 shown]
	v_add_f64 v[144:145], v[51:52], -v[19:20]
	v_add_f64 v[19:20], v[19:20], -v[51:52]
	v_fma_f64 v[47:48], v[47:48], -0.5, v[29:30]
	v_add_f64 v[51:52], v[35:36], -v[23:24]
	v_fma_f64 v[29:30], v[86:87], -0.5, v[29:30]
	v_fma_f64 v[86:87], v[98:99], s[8:9], v[100:101]
	v_add_f64 v[146:147], v[23:24], -v[35:36]
	v_add_f64 v[66:67], v[92:93], -v[43:44]
	;; [unrolled: 1-line block ×3, first 2 shown]
	v_add_f64 v[21:22], v[88:89], v[21:22]
	v_fma_f64 v[148:149], v[33:34], s[8:9], v[15:16]
	v_fma_f64 v[15:16], v[33:34], s[16:17], v[15:16]
	;; [unrolled: 1-line block ×4, first 2 shown]
	v_add_f64 v[84:85], v[84:85], v[94:95]
	v_add_f64 v[94:95], v[31:32], v[92:93]
	v_fma_f64 v[72:73], v[72:73], -0.5, v[31:32]
	v_fma_f64 v[31:32], v[82:83], -0.5, v[31:32]
	v_fma_f64 v[82:83], v[96:97], s[16:17], v[80:81]
	v_fma_f64 v[80:81], v[96:97], s[8:9], v[80:81]
	;; [unrolled: 1-line block ×3, first 2 shown]
	v_add_f64 v[35:36], v[68:69], v[35:36]
	v_add_f64 v[98:99], v[152:153], -v[41:42]
	v_add_f64 v[64:65], v[64:65], v[25:26]
	v_add_f64 v[25:26], v[25:26], -v[152:153]
	v_add_f64 v[51:52], v[19:20], v[51:52]
	v_fma_f64 v[19:20], v[45:46], s[0:1], v[90:91]
	v_fma_f64 v[53:54], v[53:54], s[10:11], v[86:87]
	v_add_f64 v[152:153], v[37:38], -v[41:42]
	v_fma_f64 v[150:151], v[66:67], s[8:9], v[47:48]
	v_fma_f64 v[47:48], v[66:67], s[16:17], v[47:48]
	;; [unrolled: 1-line block ×6, first 2 shown]
	ds_write_b128 v255, v[1:4]
	ds_write_b128 v255, v[5:8] offset:816
	ds_write_b128 v255, v[13:16] offset:1632
	;; [unrolled: 1-line block ×4, first 2 shown]
	buffer_load_dword v0, off, s[60:63], 0 offset:136 ; 4-byte Folded Reload
	v_add_f64 v[94:95], v[94:95], v[27:28]
	v_add_f64 v[27:28], v[27:28], -v[92:93]
	v_add_f64 v[92:93], v[39:40], -v[43:44]
	v_fma_f64 v[68:69], v[33:34], s[10:11], v[82:83]
	v_add_f64 v[82:83], v[144:145], v[146:147]
	v_fma_f64 v[29:30], v[102:103], s[8:9], v[29:30]
	v_fma_f64 v[166:167], v[100:101], s[8:9], v[31:32]
	;; [unrolled: 1-line block ×4, first 2 shown]
	v_add_f64 v[23:24], v[35:36], v[23:24]
	v_add_f64 v[148:149], v[25:26], v[152:153]
	v_fma_f64 v[25:26], v[57:58], s[0:1], v[55:56]
	v_fma_f64 v[33:34], v[84:85], s[0:1], v[74:75]
	v_fma_f64 v[35:36], v[51:52], s[0:1], v[86:87]
	v_add_f64 v[164:165], v[43:44], -v[39:40]
	v_add_f64 v[64:65], v[64:65], v[37:38]
	v_fma_f64 v[37:38], v[84:85], s[0:1], v[53:54]
	v_fma_f64 v[160:161], v[98:99], s[16:17], v[72:73]
	;; [unrolled: 1-line block ×4, first 2 shown]
	v_add_f64 v[146:147], v[154:155], v[156:157]
	v_fma_f64 v[47:48], v[102:103], s[10:11], v[47:48]
	v_add_f64 v[94:95], v[94:95], v[39:40]
	v_fma_f64 v[39:40], v[51:52], s[0:1], v[96:97]
	;; [unrolled: 2-line block ×3, first 2 shown]
	v_fma_f64 v[27:28], v[82:83], s[0:1], v[68:69]
	v_fma_f64 v[66:67], v[66:67], s[10:11], v[29:30]
	;; [unrolled: 1-line block ×6, first 2 shown]
	s_waitcnt vmcnt(0)
	ds_write_b128 v0, v[21:24]
	ds_write_b128 v0, v[25:28] offset:816
	ds_write_b128 v0, v[33:36] offset:1632
	;; [unrolled: 1-line block ×4, first 2 shown]
	buffer_load_dword v0, off, s[60:63], 0 offset:132 ; 4-byte Folded Reload
	v_fma_f64 v[150:151], v[100:101], s[10:11], v[160:161]
	v_add_f64 v[152:153], v[162:163], v[164:165]
	v_fma_f64 v[72:73], v[100:101], s[2:3], v[72:73]
	v_add_f64 v[41:42], v[64:65], v[41:42]
	v_add_f64 v[43:44], v[94:95], v[43:44]
	v_fma_f64 v[45:46], v[146:147], s[0:1], v[144:145]
	v_fma_f64 v[49:50], v[146:147], s[0:1], v[47:48]
	v_fma_f64 v[53:54], v[148:149], s[0:1], v[102:103]
	v_fma_f64 v[55:56], v[92:93], s[0:1], v[154:155]
	v_fma_f64 v[64:65], v[148:149], s[0:1], v[66:67]
	v_fma_f64 v[66:67], v[92:93], s[0:1], v[98:99]
	v_fma_f64 v[47:48], v[152:153], s[0:1], v[150:151]
	v_fma_f64 v[51:52], v[152:153], s[0:1], v[72:73]
	s_waitcnt vmcnt(0)
	ds_write_b128 v0, v[41:44]
	ds_write_b128 v0, v[45:48] offset:816
	ds_write_b128 v0, v[53:56] offset:1632
	;; [unrolled: 1-line block ×4, first 2 shown]
	s_waitcnt lgkmcnt(0)
	s_barrier
	buffer_gl0_inv
	ds_read_b128 v[1:4], v250 offset:8160
	ds_read_b128 v[5:8], v250 offset:12240
	;; [unrolled: 1-line block ×8, first 2 shown]
	s_waitcnt lgkmcnt(7)
	v_mul_f64 v[33:34], v[142:143], v[3:4]
	s_waitcnt lgkmcnt(6)
	v_mul_f64 v[35:36], v[138:139], v[7:8]
	;; [unrolled: 2-line block ×4, first 2 shown]
	v_mul_f64 v[41:42], v[142:143], v[1:2]
	v_mul_f64 v[43:44], v[138:139], v[5:6]
	;; [unrolled: 1-line block ×4, first 2 shown]
	s_waitcnt lgkmcnt(3)
	v_mul_f64 v[68:69], v[130:131], v[19:20]
	s_waitcnt lgkmcnt(1)
	v_mul_f64 v[78:79], v[118:119], v[27:28]
	v_mul_f64 v[70:71], v[130:131], v[17:18]
	;; [unrolled: 1-line block ×3, first 2 shown]
	v_fma_f64 v[47:48], v[140:141], v[1:2], v[33:34]
	v_fma_f64 v[49:50], v[136:137], v[5:6], v[35:36]
	;; [unrolled: 1-line block ×4, first 2 shown]
	v_fma_f64 v[57:58], v[140:141], v[3:4], -v[41:42]
	v_fma_f64 v[62:63], v[136:137], v[7:8], -v[43:44]
	ds_read_b128 v[33:36], v250 offset:5440
	ds_read_b128 v[37:40], v250 offset:13600
	ds_read_b128 v[1:4], v250
	ds_read_b128 v[5:8], v250 offset:6800
	v_fma_f64 v[45:46], v[60:61], v[11:12], -v[45:46]
	v_fma_f64 v[51:52], v[76:77], v[15:16], -v[51:52]
	v_fma_f64 v[25:26], v[116:117], v[25:26], v[78:79]
	ds_read_b128 v[9:12], v250 offset:14960
	ds_read_b128 v[13:16], v250 offset:1360
	v_fma_f64 v[19:20], v[128:129], v[19:20], -v[70:71]
	v_fma_f64 v[27:28], v[116:117], v[27:28], -v[80:81]
	v_mul_f64 v[80:81], v[114:115], v[21:22]
	v_add_f64 v[41:42], v[47:48], v[49:50]
	v_add_f64 v[59:60], v[53:54], v[55:56]
	s_waitcnt lgkmcnt(5)
	v_mul_f64 v[64:65], v[122:123], v[35:36]
	v_mul_f64 v[66:67], v[122:123], v[33:34]
	s_waitcnt lgkmcnt(4)
	v_mul_f64 v[72:73], v[126:127], v[39:40]
	v_add_f64 v[76:77], v[57:58], v[62:63]
	s_waitcnt lgkmcnt(2)
	v_mul_f64 v[82:83], v[134:135], v[7:8]
	v_add_f64 v[86:87], v[1:2], v[53:54]
	v_mul_f64 v[74:75], v[126:127], v[37:38]
	v_mul_f64 v[84:85], v[134:135], v[5:6]
	v_add_f64 v[90:91], v[45:46], -v[51:52]
	v_add_f64 v[92:93], v[57:58], -v[62:63]
	v_add_f64 v[78:79], v[45:46], v[51:52]
	s_waitcnt lgkmcnt(1)
	v_mul_f64 v[96:97], v[110:111], v[9:10]
	v_add_f64 v[102:103], v[45:46], -v[57:58]
	v_fma_f64 v[88:89], v[41:42], -0.5, v[1:2]
	ds_read_b128 v[41:44], v250 offset:19040
	v_fma_f64 v[1:2], v[59:60], -0.5, v[1:2]
	v_fma_f64 v[33:34], v[120:121], v[33:34], v[64:65]
	v_fma_f64 v[35:36], v[120:121], v[35:36], -v[66:67]
	v_fma_f64 v[59:60], v[128:129], v[17:18], v[68:69]
	v_fma_f64 v[37:38], v[124:125], v[37:38], v[72:73]
	v_fma_f64 v[64:65], v[76:77], -0.5, v[3:4]
	v_add_f64 v[66:67], v[53:54], -v[55:56]
	v_add_f64 v[17:18], v[3:4], v[45:46]
	v_fma_f64 v[68:69], v[132:133], v[5:6], v[82:83]
	v_add_f64 v[5:6], v[86:87], v[47:48]
	v_fma_f64 v[39:40], v[124:125], v[39:40], -v[74:75]
	v_fma_f64 v[70:71], v[132:133], v[7:8], -v[84:85]
	v_add_f64 v[72:73], v[53:54], -v[47:48]
	v_add_f64 v[74:75], v[55:56], -v[49:50]
	v_mul_f64 v[76:77], v[114:115], v[23:24]
	v_add_f64 v[53:54], v[47:48], -v[53:54]
	v_add_f64 v[86:87], v[49:50], -v[55:56]
	;; [unrolled: 1-line block ×3, first 2 shown]
	v_fma_f64 v[3:4], v[78:79], -0.5, v[3:4]
	s_waitcnt lgkmcnt(0)
	v_mul_f64 v[98:99], v[106:107], v[43:44]
	v_fma_f64 v[7:8], v[90:91], s[8:9], v[88:89]
	v_fma_f64 v[82:83], v[90:91], s[16:17], v[88:89]
	;; [unrolled: 1-line block ×4, first 2 shown]
	v_mul_f64 v[88:89], v[110:111], v[11:12]
	v_add_f64 v[110:111], v[51:52], -v[62:63]
	v_add_f64 v[94:95], v[59:60], v[37:38]
	v_add_f64 v[114:115], v[33:34], v[25:26]
	v_fma_f64 v[100:101], v[66:67], s[16:17], v[64:65]
	v_add_f64 v[17:18], v[17:18], v[57:58]
	v_fma_f64 v[64:65], v[66:67], s[8:9], v[64:65]
	v_add_f64 v[5:6], v[5:6], v[49:50]
	v_mul_f64 v[106:107], v[106:107], v[41:42]
	v_add_f64 v[78:79], v[13:14], v[33:34]
	v_fma_f64 v[23:24], v[112:113], v[23:24], -v[80:81]
	v_add_f64 v[49:50], v[72:73], v[74:75]
	v_fma_f64 v[21:22], v[112:113], v[21:22], v[76:77]
	v_add_f64 v[45:46], v[57:58], -v[45:46]
	v_add_f64 v[53:54], v[53:54], v[86:87]
	v_fma_f64 v[86:87], v[108:109], v[11:12], -v[96:97]
	v_add_f64 v[57:58], v[62:63], -v[51:52]
	v_fma_f64 v[41:42], v[104:105], v[41:42], v[98:99]
	v_fma_f64 v[7:8], v[92:93], s[2:3], v[7:8]
	v_fma_f64 v[72:73], v[92:93], s[10:11], v[82:83]
	v_fma_f64 v[74:75], v[90:91], s[2:3], v[84:85]
	v_fma_f64 v[76:77], v[90:91], s[10:11], v[1:2]
	v_add_f64 v[82:83], v[35:36], -v[27:28]
	v_fma_f64 v[84:85], v[108:109], v[9:10], v[88:89]
	v_fma_f64 v[80:81], v[94:95], -0.5, v[13:14]
	v_add_f64 v[90:91], v[102:103], v[110:111]
	v_fma_f64 v[88:89], v[47:48], s[10:11], v[100:101]
	v_add_f64 v[92:93], v[19:20], -v[39:40]
	v_fma_f64 v[94:95], v[114:115], -0.5, v[13:14]
	v_add_f64 v[11:12], v[17:18], v[62:63]
	v_add_f64 v[1:2], v[5:6], v[55:56]
	v_fma_f64 v[55:56], v[47:48], s[2:3], v[64:65]
	v_fma_f64 v[64:65], v[47:48], s[8:9], v[3:4]
	v_fma_f64 v[43:44], v[104:105], v[43:44], -v[106:107]
	v_fma_f64 v[47:48], v[47:48], s[16:17], v[3:4]
	v_add_f64 v[98:99], v[37:38], -v[25:26]
	v_add_f64 v[100:101], v[27:28], -v[39:40]
	v_add_f64 v[106:107], v[68:69], -v[21:22]
	v_add_f64 v[45:46], v[45:46], v[57:58]
	v_add_f64 v[96:97], v[68:69], v[41:42]
	v_fma_f64 v[5:6], v[49:50], s[0:1], v[7:8]
	v_fma_f64 v[9:10], v[49:50], s[0:1], v[72:73]
	v_add_f64 v[49:50], v[19:20], v[39:40]
	v_fma_f64 v[13:14], v[53:54], s[0:1], v[74:75]
	v_fma_f64 v[17:18], v[53:54], s[0:1], v[76:77]
	v_add_f64 v[53:54], v[78:79], v[59:60]
	v_add_f64 v[72:73], v[35:36], v[27:28]
	v_fma_f64 v[61:62], v[82:83], s[8:9], v[80:81]
	v_add_f64 v[74:75], v[33:34], -v[59:60]
	v_add_f64 v[76:77], v[25:26], -v[37:38]
	v_fma_f64 v[7:8], v[90:91], s[0:1], v[88:89]
	v_fma_f64 v[78:79], v[82:83], s[16:17], v[80:81]
	;; [unrolled: 1-line block ×3, first 2 shown]
	v_add_f64 v[88:89], v[59:60], -v[33:34]
	v_add_f64 v[3:4], v[11:12], v[51:52]
	v_add_f64 v[51:52], v[21:22], v[84:85]
	v_fma_f64 v[11:12], v[90:91], s[0:1], v[55:56]
	v_fma_f64 v[55:56], v[66:67], s[10:11], v[64:65]
	v_add_f64 v[63:64], v[23:24], v[86:87]
	v_add_f64 v[90:91], v[70:71], v[43:44]
	;; [unrolled: 1-line block ×3, first 2 shown]
	v_add_f64 v[33:34], v[33:34], -v[25:26]
	v_fma_f64 v[47:48], v[66:67], s[2:3], v[47:48]
	v_add_f64 v[65:66], v[29:30], v[68:69]
	v_fma_f64 v[49:50], v[49:50], -0.5, v[15:16]
	v_add_f64 v[108:109], v[41:42], -v[84:85]
	v_add_f64 v[114:115], v[70:71], -v[23:24]
	v_add_f64 v[53:54], v[53:54], v[37:38]
	v_add_f64 v[37:38], v[59:60], -v[37:38]
	v_fma_f64 v[15:16], v[72:73], -0.5, v[15:16]
	v_fma_f64 v[59:60], v[92:93], s[2:3], v[61:62]
	v_add_f64 v[61:62], v[74:75], v[76:77]
	v_add_f64 v[72:73], v[70:71], -v[43:44]
	v_fma_f64 v[74:75], v[92:93], s[10:11], v[78:79]
	v_fma_f64 v[76:77], v[82:83], s[2:3], v[80:81]
	v_add_f64 v[80:81], v[88:89], v[98:99]
	v_fma_f64 v[88:89], v[92:93], s[8:9], v[94:95]
	v_add_f64 v[92:93], v[31:32], v[70:71]
	v_fma_f64 v[51:52], v[51:52], -0.5, v[29:30]
	v_add_f64 v[94:95], v[68:69], -v[41:42]
	v_fma_f64 v[63:64], v[63:64], -0.5, v[31:32]
	v_add_f64 v[78:79], v[23:24], -v[86:87]
	;; [unrolled: 2-line block ×3, first 2 shown]
	v_fma_f64 v[31:32], v[90:91], -0.5, v[31:32]
	v_add_f64 v[57:58], v[57:58], v[19:20]
	v_fma_f64 v[90:91], v[33:34], s[16:17], v[49:50]
	v_add_f64 v[98:99], v[35:36], -v[19:20]
	v_add_f64 v[19:20], v[19:20], -v[35:36]
	;; [unrolled: 1-line block ×3, first 2 shown]
	v_fma_f64 v[49:50], v[33:34], s[8:9], v[49:50]
	v_fma_f64 v[102:103], v[37:38], s[8:9], v[15:16]
	;; [unrolled: 1-line block ×3, first 2 shown]
	v_add_f64 v[65:66], v[65:66], v[21:22]
	v_add_f64 v[116:117], v[43:44], -v[86:87]
	v_add_f64 v[21:22], v[21:22], -v[68:69]
	;; [unrolled: 1-line block ×3, first 2 shown]
	v_fma_f64 v[82:83], v[82:83], s[10:11], v[88:89]
	v_add_f64 v[92:93], v[92:93], v[23:24]
	v_fma_f64 v[104:105], v[72:73], s[8:9], v[51:52]
	v_fma_f64 v[51:52], v[72:73], s[16:17], v[51:52]
	;; [unrolled: 1-line block ×3, first 2 shown]
	v_add_f64 v[23:24], v[23:24], -v[70:71]
	v_fma_f64 v[110:111], v[78:79], s[16:17], v[29:30]
	v_add_f64 v[69:70], v[86:87], -v[43:44]
	v_fma_f64 v[118:119], v[96:97], s[8:9], v[31:32]
	v_fma_f64 v[29:30], v[78:79], s[8:9], v[29:30]
	;; [unrolled: 1-line block ×4, first 2 shown]
	v_add_f64 v[39:40], v[57:58], v[39:40]
	v_fma_f64 v[57:58], v[37:38], s[10:11], v[90:91]
	v_add_f64 v[88:89], v[98:99], v[100:101]
	v_fma_f64 v[90:91], v[33:34], s[10:11], v[102:103]
	;; [unrolled: 2-line block ×3, first 2 shown]
	v_fma_f64 v[49:50], v[37:38], s[2:3], v[49:50]
	v_add_f64 v[65:66], v[65:66], v[84:85]
	v_add_f64 v[102:103], v[106:107], v[108:109]
	;; [unrolled: 1-line block ×3, first 2 shown]
	v_fma_f64 v[15:16], v[45:46], s[0:1], v[55:56]
	v_add_f64 v[86:87], v[92:93], v[86:87]
	v_fma_f64 v[84:85], v[78:79], s[2:3], v[104:105]
	v_add_f64 v[104:105], v[114:115], v[116:117]
	v_fma_f64 v[92:93], v[96:97], s[10:11], v[112:113]
	v_fma_f64 v[51:52], v[78:79], s[10:11], v[51:52]
	v_fma_f64 v[78:79], v[72:73], s[2:3], v[110:111]
	v_add_f64 v[69:70], v[23:24], v[69:70]
	v_fma_f64 v[106:107], v[94:95], s[10:11], v[118:119]
	v_fma_f64 v[71:72], v[72:73], s[10:11], v[29:30]
	;; [unrolled: 1-line block ×5, first 2 shown]
	v_add_f64 v[21:22], v[53:54], v[25:26]
	v_add_f64 v[23:24], v[39:40], v[27:28]
	v_fma_f64 v[25:26], v[61:62], s[0:1], v[59:60]
	v_fma_f64 v[27:28], v[88:89], s[0:1], v[57:58]
	;; [unrolled: 1-line block ×8, first 2 shown]
	v_add_f64 v[41:42], v[65:66], v[41:42]
	v_add_f64 v[43:44], v[86:87], v[43:44]
	v_fma_f64 v[45:46], v[102:103], s[0:1], v[84:85]
	v_fma_f64 v[47:48], v[104:105], s[0:1], v[92:93]
	v_fma_f64 v[49:50], v[102:103], s[0:1], v[51:52]
	v_fma_f64 v[53:54], v[67:68], s[0:1], v[78:79]
	v_fma_f64 v[55:56], v[69:70], s[0:1], v[106:107]
	v_fma_f64 v[57:58], v[67:68], s[0:1], v[71:72]
	v_fma_f64 v[59:60], v[69:70], s[0:1], v[94:95]
	v_fma_f64 v[51:52], v[104:105], s[0:1], v[63:64]
	ds_write_b128 v220, v[1:4]
	ds_write_b128 v249, v[5:8] offset:4080
	ds_write_b128 v249, v[13:16] offset:8160
	;; [unrolled: 1-line block ×14, first 2 shown]
	s_waitcnt lgkmcnt(0)
	s_barrier
	buffer_gl0_inv
	s_and_b32 exec_lo, exec_lo, vcc_lo
	s_cbranch_execz .LBB0_15
; %bb.14:
	global_load_dwordx4 v[0:3], v247, s[12:13]
	ds_read_b128 v[4:7], v220
	ds_read_b128 v[8:11], v249 offset:1200
	v_mad_u64_u32 v[14:15], null, s6, v223, 0
	s_mov_b32 s0, 0xe68019b3
	s_mov_b32 s1, 0x3f49b34c
	s_mul_i32 s3, s4, 0x4b0
	s_waitcnt vmcnt(0) lgkmcnt(1)
	v_mul_f64 v[12:13], v[6:7], v[2:3]
	v_mul_f64 v[2:3], v[4:5], v[2:3]
	v_fma_f64 v[4:5], v[4:5], v[0:1], v[12:13]
	v_fma_f64 v[2:3], v[0:1], v[6:7], -v[2:3]
	v_mad_u64_u32 v[6:7], null, s4, v248, 0
	v_mov_b32_e32 v0, v15
	v_mov_b32_e32 v1, v7
	v_mad_u64_u32 v[12:13], null, s7, v223, v[0:1]
	v_mov_b32_e32 v15, v12
	v_mad_u64_u32 v[16:17], null, s5, v248, v[1:2]
	v_mul_f64 v[0:1], v[4:5], s[0:1]
	v_mul_f64 v[2:3], v[2:3], s[0:1]
	v_lshlrev_b64 v[4:5], 4, v[14:15]
	v_mov_b32_e32 v7, v16
	v_add_co_u32 v4, vcc_lo, s14, v4
	v_add_co_ci_u32_e32 v5, vcc_lo, s15, v5, vcc_lo
	v_lshlrev_b64 v[6:7], 4, v[6:7]
	v_add_co_u32 v6, vcc_lo, v4, v6
	v_add_co_ci_u32_e32 v7, vcc_lo, v5, v7, vcc_lo
	v_add_co_u32 v14, vcc_lo, v6, s3
	global_store_dwordx4 v[6:7], v[0:3], off
	global_load_dwordx4 v[0:3], v247, s[12:13] offset:1200
	s_waitcnt vmcnt(0) lgkmcnt(0)
	v_mul_f64 v[4:5], v[10:11], v[2:3]
	v_mul_f64 v[2:3], v[8:9], v[2:3]
	v_fma_f64 v[4:5], v[8:9], v[0:1], v[4:5]
	v_fma_f64 v[0:1], v[0:1], v[10:11], -v[2:3]
	v_mul_f64 v[2:3], v[4:5], s[0:1]
	v_mul_f64 v[4:5], v[0:1], s[0:1]
	v_add_co_u32 v0, s2, s12, v247
	v_add_co_ci_u32_e64 v1, null, s13, 0, s2
	s_mul_i32 s2, s5, 0x4b0
	s_mul_hi_u32 s5, s4, 0x4b0
	s_add_i32 s2, s5, s2
	v_add_co_ci_u32_e32 v15, vcc_lo, s2, v7, vcc_lo
	v_add_co_u32 v16, vcc_lo, 0x800, v0
	v_add_co_ci_u32_e32 v17, vcc_lo, 0, v1, vcc_lo
	global_store_dwordx4 v[14:15], v[2:5], off
	global_load_dwordx4 v[2:5], v[16:17], off offset:352
	ds_read_b128 v[6:9], v249 offset:2400
	ds_read_b128 v[10:13], v249 offset:3600
	s_waitcnt vmcnt(0) lgkmcnt(1)
	v_mul_f64 v[18:19], v[8:9], v[4:5]
	v_mul_f64 v[4:5], v[6:7], v[4:5]
	v_fma_f64 v[6:7], v[6:7], v[2:3], v[18:19]
	v_fma_f64 v[4:5], v[2:3], v[8:9], -v[4:5]
	v_mul_f64 v[2:3], v[6:7], s[0:1]
	v_mul_f64 v[4:5], v[4:5], s[0:1]
	v_add_co_u32 v6, vcc_lo, v14, s3
	v_add_co_ci_u32_e32 v7, vcc_lo, s2, v15, vcc_lo
	v_add_co_u32 v14, vcc_lo, v6, s3
	v_add_co_ci_u32_e32 v15, vcc_lo, s2, v7, vcc_lo
	global_store_dwordx4 v[6:7], v[2:5], off
	global_load_dwordx4 v[2:5], v[16:17], off offset:1552
	v_add_co_u32 v16, vcc_lo, 0x1000, v0
	v_add_co_ci_u32_e32 v17, vcc_lo, 0, v1, vcc_lo
	s_waitcnt vmcnt(0) lgkmcnt(0)
	v_mul_f64 v[8:9], v[12:13], v[4:5]
	v_mul_f64 v[4:5], v[10:11], v[4:5]
	v_fma_f64 v[8:9], v[10:11], v[2:3], v[8:9]
	v_fma_f64 v[4:5], v[2:3], v[12:13], -v[4:5]
	v_mul_f64 v[2:3], v[8:9], s[0:1]
	v_mul_f64 v[4:5], v[4:5], s[0:1]
	global_store_dwordx4 v[14:15], v[2:5], off
	global_load_dwordx4 v[2:5], v[16:17], off offset:704
	ds_read_b128 v[6:9], v249 offset:4800
	ds_read_b128 v[10:13], v249 offset:6000
	s_waitcnt vmcnt(0) lgkmcnt(1)
	v_mul_f64 v[18:19], v[8:9], v[4:5]
	v_mul_f64 v[4:5], v[6:7], v[4:5]
	v_fma_f64 v[6:7], v[6:7], v[2:3], v[18:19]
	v_fma_f64 v[4:5], v[2:3], v[8:9], -v[4:5]
	v_mul_f64 v[2:3], v[6:7], s[0:1]
	v_mul_f64 v[4:5], v[4:5], s[0:1]
	v_add_co_u32 v6, vcc_lo, v14, s3
	v_add_co_ci_u32_e32 v7, vcc_lo, s2, v15, vcc_lo
	v_add_co_u32 v14, vcc_lo, v6, s3
	v_add_co_ci_u32_e32 v15, vcc_lo, s2, v7, vcc_lo
	global_store_dwordx4 v[6:7], v[2:5], off
	global_load_dwordx4 v[2:5], v[16:17], off offset:1904
	v_add_co_u32 v6, vcc_lo, 0x1800, v0
	v_add_co_ci_u32_e32 v7, vcc_lo, 0, v1, vcc_lo
	s_waitcnt vmcnt(0) lgkmcnt(0)
	v_mul_f64 v[8:9], v[12:13], v[4:5]
	v_mul_f64 v[4:5], v[10:11], v[4:5]
	v_fma_f64 v[8:9], v[10:11], v[2:3], v[8:9]
	v_fma_f64 v[4:5], v[2:3], v[12:13], -v[4:5]
	v_mul_f64 v[2:3], v[8:9], s[0:1]
	v_mul_f64 v[4:5], v[4:5], s[0:1]
	global_store_dwordx4 v[14:15], v[2:5], off
	global_load_dwordx4 v[2:5], v[6:7], off offset:1056
	ds_read_b128 v[6:9], v249 offset:7200
	ds_read_b128 v[10:13], v249 offset:8400
	s_waitcnt vmcnt(0) lgkmcnt(1)
	v_mul_f64 v[16:17], v[8:9], v[4:5]
	v_mul_f64 v[4:5], v[6:7], v[4:5]
	v_fma_f64 v[6:7], v[6:7], v[2:3], v[16:17]
	v_fma_f64 v[4:5], v[2:3], v[8:9], -v[4:5]
	v_mul_f64 v[2:3], v[6:7], s[0:1]
	v_mul_f64 v[4:5], v[4:5], s[0:1]
	v_add_co_u32 v6, vcc_lo, v14, s3
	v_add_co_ci_u32_e32 v7, vcc_lo, s2, v15, vcc_lo
	v_add_co_u32 v8, vcc_lo, 0x2000, v0
	v_add_co_ci_u32_e32 v9, vcc_lo, 0, v1, vcc_lo
	global_store_dwordx4 v[6:7], v[2:5], off
	global_load_dwordx4 v[2:5], v[8:9], off offset:208
	s_waitcnt vmcnt(0) lgkmcnt(0)
	v_mul_f64 v[14:15], v[12:13], v[4:5]
	v_mul_f64 v[4:5], v[10:11], v[4:5]
	v_fma_f64 v[10:11], v[10:11], v[2:3], v[14:15]
	v_fma_f64 v[4:5], v[2:3], v[12:13], -v[4:5]
	v_add_co_u32 v14, vcc_lo, v6, s3
	v_add_co_ci_u32_e32 v15, vcc_lo, s2, v7, vcc_lo
	v_mul_f64 v[2:3], v[10:11], s[0:1]
	v_mul_f64 v[4:5], v[4:5], s[0:1]
	global_store_dwordx4 v[14:15], v[2:5], off
	global_load_dwordx4 v[2:5], v[8:9], off offset:1408
	ds_read_b128 v[6:9], v249 offset:9600
	ds_read_b128 v[10:13], v249 offset:10800
	s_waitcnt vmcnt(0) lgkmcnt(1)
	v_mul_f64 v[16:17], v[8:9], v[4:5]
	v_mul_f64 v[4:5], v[6:7], v[4:5]
	v_fma_f64 v[6:7], v[6:7], v[2:3], v[16:17]
	v_fma_f64 v[4:5], v[2:3], v[8:9], -v[4:5]
	v_mul_f64 v[2:3], v[6:7], s[0:1]
	v_mul_f64 v[4:5], v[4:5], s[0:1]
	v_add_co_u32 v6, vcc_lo, v14, s3
	v_add_co_ci_u32_e32 v7, vcc_lo, s2, v15, vcc_lo
	v_add_co_u32 v8, vcc_lo, 0x2800, v0
	v_add_co_ci_u32_e32 v9, vcc_lo, 0, v1, vcc_lo
	global_store_dwordx4 v[6:7], v[2:5], off
	global_load_dwordx4 v[2:5], v[8:9], off offset:560
	s_waitcnt vmcnt(0) lgkmcnt(0)
	v_mul_f64 v[14:15], v[12:13], v[4:5]
	v_mul_f64 v[4:5], v[10:11], v[4:5]
	v_fma_f64 v[10:11], v[10:11], v[2:3], v[14:15]
	v_fma_f64 v[4:5], v[2:3], v[12:13], -v[4:5]
	v_add_co_u32 v14, vcc_lo, v6, s3
	v_add_co_ci_u32_e32 v15, vcc_lo, s2, v7, vcc_lo
	v_mul_f64 v[2:3], v[10:11], s[0:1]
	v_mul_f64 v[4:5], v[4:5], s[0:1]
	global_store_dwordx4 v[14:15], v[2:5], off
	global_load_dwordx4 v[2:5], v[8:9], off offset:1760
	ds_read_b128 v[6:9], v249 offset:12000
	ds_read_b128 v[10:13], v249 offset:13200
	s_waitcnt vmcnt(0) lgkmcnt(1)
	v_mul_f64 v[16:17], v[8:9], v[4:5]
	v_mul_f64 v[4:5], v[6:7], v[4:5]
	v_fma_f64 v[6:7], v[6:7], v[2:3], v[16:17]
	v_fma_f64 v[4:5], v[2:3], v[8:9], -v[4:5]
	v_mul_f64 v[2:3], v[6:7], s[0:1]
	v_mul_f64 v[4:5], v[4:5], s[0:1]
	v_add_co_u32 v6, vcc_lo, v14, s3
	v_add_co_ci_u32_e32 v7, vcc_lo, s2, v15, vcc_lo
	v_add_co_u32 v8, vcc_lo, 0x3000, v0
	v_add_co_ci_u32_e32 v9, vcc_lo, 0, v1, vcc_lo
	;; [unrolled: 2-line block ×4, first 2 shown]
	global_store_dwordx4 v[6:7], v[2:5], off
	global_load_dwordx4 v[2:5], v[8:9], off offset:912
	s_waitcnt vmcnt(0) lgkmcnt(0)
	v_mul_f64 v[8:9], v[12:13], v[4:5]
	v_mul_f64 v[4:5], v[10:11], v[4:5]
	v_fma_f64 v[8:9], v[10:11], v[2:3], v[8:9]
	v_fma_f64 v[4:5], v[2:3], v[12:13], -v[4:5]
	v_mul_f64 v[2:3], v[8:9], s[0:1]
	v_mul_f64 v[4:5], v[4:5], s[0:1]
	global_store_dwordx4 v[14:15], v[2:5], off
	global_load_dwordx4 v[2:5], v[16:17], off offset:64
	ds_read_b128 v[6:9], v249 offset:14400
	ds_read_b128 v[10:13], v249 offset:15600
	s_waitcnt vmcnt(0) lgkmcnt(1)
	v_mul_f64 v[18:19], v[8:9], v[4:5]
	v_mul_f64 v[4:5], v[6:7], v[4:5]
	v_fma_f64 v[6:7], v[6:7], v[2:3], v[18:19]
	v_fma_f64 v[4:5], v[2:3], v[8:9], -v[4:5]
	v_mul_f64 v[2:3], v[6:7], s[0:1]
	v_mul_f64 v[4:5], v[4:5], s[0:1]
	v_add_co_u32 v6, vcc_lo, v14, s3
	v_add_co_ci_u32_e32 v7, vcc_lo, s2, v15, vcc_lo
	v_add_co_u32 v14, vcc_lo, v6, s3
	v_add_co_ci_u32_e32 v15, vcc_lo, s2, v7, vcc_lo
	global_store_dwordx4 v[6:7], v[2:5], off
	global_load_dwordx4 v[2:5], v[16:17], off offset:1264
	v_add_co_u32 v16, vcc_lo, 0x4000, v0
	v_add_co_ci_u32_e32 v17, vcc_lo, 0, v1, vcc_lo
	s_waitcnt vmcnt(0) lgkmcnt(0)
	v_mul_f64 v[8:9], v[12:13], v[4:5]
	v_mul_f64 v[4:5], v[10:11], v[4:5]
	v_fma_f64 v[8:9], v[10:11], v[2:3], v[8:9]
	v_fma_f64 v[4:5], v[2:3], v[12:13], -v[4:5]
	v_mul_f64 v[2:3], v[8:9], s[0:1]
	v_mul_f64 v[4:5], v[4:5], s[0:1]
	global_store_dwordx4 v[14:15], v[2:5], off
	global_load_dwordx4 v[2:5], v[16:17], off offset:416
	ds_read_b128 v[6:9], v249 offset:16800
	ds_read_b128 v[10:13], v249 offset:18000
	s_waitcnt vmcnt(0) lgkmcnt(1)
	v_mul_f64 v[18:19], v[8:9], v[4:5]
	v_mul_f64 v[4:5], v[6:7], v[4:5]
	v_fma_f64 v[6:7], v[6:7], v[2:3], v[18:19]
	v_fma_f64 v[4:5], v[2:3], v[8:9], -v[4:5]
	v_mul_f64 v[2:3], v[6:7], s[0:1]
	v_mul_f64 v[4:5], v[4:5], s[0:1]
	v_add_co_u32 v6, vcc_lo, v14, s3
	v_add_co_ci_u32_e32 v7, vcc_lo, s2, v15, vcc_lo
	global_store_dwordx4 v[6:7], v[2:5], off
	global_load_dwordx4 v[2:5], v[16:17], off offset:1616
	s_waitcnt vmcnt(0) lgkmcnt(0)
	v_mul_f64 v[8:9], v[12:13], v[4:5]
	v_mul_f64 v[4:5], v[10:11], v[4:5]
	v_fma_f64 v[8:9], v[10:11], v[2:3], v[8:9]
	v_fma_f64 v[4:5], v[2:3], v[12:13], -v[4:5]
	v_mul_f64 v[2:3], v[8:9], s[0:1]
	v_mul_f64 v[4:5], v[4:5], s[0:1]
	v_add_co_u32 v8, vcc_lo, v6, s3
	v_add_co_ci_u32_e32 v9, vcc_lo, s2, v7, vcc_lo
	v_add_co_u32 v0, vcc_lo, 0x4800, v0
	v_add_co_ci_u32_e32 v1, vcc_lo, 0, v1, vcc_lo
	global_store_dwordx4 v[8:9], v[2:5], off
	global_load_dwordx4 v[0:3], v[0:1], off offset:768
	ds_read_b128 v[4:7], v249 offset:19200
	s_waitcnt vmcnt(0) lgkmcnt(0)
	v_mul_f64 v[10:11], v[6:7], v[2:3]
	v_mul_f64 v[2:3], v[4:5], v[2:3]
	v_fma_f64 v[4:5], v[4:5], v[0:1], v[10:11]
	v_fma_f64 v[2:3], v[0:1], v[6:7], -v[2:3]
	v_mul_f64 v[0:1], v[4:5], s[0:1]
	v_mul_f64 v[2:3], v[2:3], s[0:1]
	v_add_co_u32 v4, vcc_lo, v8, s3
	v_add_co_ci_u32_e32 v5, vcc_lo, s2, v9, vcc_lo
	global_store_dwordx4 v[4:5], v[0:3], off
.LBB0_15:
	s_endpgm
	.section	.rodata,"a",@progbits
	.p2align	6, 0x0
	.amdhsa_kernel bluestein_single_back_len1275_dim1_dp_op_CI_CI
		.amdhsa_group_segment_fixed_size 61200
		.amdhsa_private_segment_fixed_size 180
		.amdhsa_kernarg_size 104
		.amdhsa_user_sgpr_count 6
		.amdhsa_user_sgpr_private_segment_buffer 1
		.amdhsa_user_sgpr_dispatch_ptr 0
		.amdhsa_user_sgpr_queue_ptr 0
		.amdhsa_user_sgpr_kernarg_segment_ptr 1
		.amdhsa_user_sgpr_dispatch_id 0
		.amdhsa_user_sgpr_flat_scratch_init 0
		.amdhsa_user_sgpr_private_segment_size 0
		.amdhsa_wavefront_size32 1
		.amdhsa_uses_dynamic_stack 0
		.amdhsa_system_sgpr_private_segment_wavefront_offset 1
		.amdhsa_system_sgpr_workgroup_id_x 1
		.amdhsa_system_sgpr_workgroup_id_y 0
		.amdhsa_system_sgpr_workgroup_id_z 0
		.amdhsa_system_sgpr_workgroup_info 0
		.amdhsa_system_vgpr_workitem_id 0
		.amdhsa_next_free_vgpr 256
		.amdhsa_next_free_sgpr 64
		.amdhsa_reserve_vcc 1
		.amdhsa_reserve_flat_scratch 0
		.amdhsa_float_round_mode_32 0
		.amdhsa_float_round_mode_16_64 0
		.amdhsa_float_denorm_mode_32 3
		.amdhsa_float_denorm_mode_16_64 3
		.amdhsa_dx10_clamp 1
		.amdhsa_ieee_mode 1
		.amdhsa_fp16_overflow 0
		.amdhsa_workgroup_processor_mode 1
		.amdhsa_memory_ordered 1
		.amdhsa_forward_progress 0
		.amdhsa_shared_vgpr_count 0
		.amdhsa_exception_fp_ieee_invalid_op 0
		.amdhsa_exception_fp_denorm_src 0
		.amdhsa_exception_fp_ieee_div_zero 0
		.amdhsa_exception_fp_ieee_overflow 0
		.amdhsa_exception_fp_ieee_underflow 0
		.amdhsa_exception_fp_ieee_inexact 0
		.amdhsa_exception_int_div_zero 0
	.end_amdhsa_kernel
	.text
.Lfunc_end0:
	.size	bluestein_single_back_len1275_dim1_dp_op_CI_CI, .Lfunc_end0-bluestein_single_back_len1275_dim1_dp_op_CI_CI
                                        ; -- End function
	.section	.AMDGPU.csdata,"",@progbits
; Kernel info:
; codeLenInByte = 30764
; NumSgprs: 66
; NumVgprs: 256
; ScratchSize: 180
; MemoryBound: 0
; FloatMode: 240
; IeeeMode: 1
; LDSByteSize: 61200 bytes/workgroup (compile time only)
; SGPRBlocks: 8
; VGPRBlocks: 31
; NumSGPRsForWavesPerEU: 66
; NumVGPRsForWavesPerEU: 256
; Occupancy: 4
; WaveLimiterHint : 1
; COMPUTE_PGM_RSRC2:SCRATCH_EN: 1
; COMPUTE_PGM_RSRC2:USER_SGPR: 6
; COMPUTE_PGM_RSRC2:TRAP_HANDLER: 0
; COMPUTE_PGM_RSRC2:TGID_X_EN: 1
; COMPUTE_PGM_RSRC2:TGID_Y_EN: 0
; COMPUTE_PGM_RSRC2:TGID_Z_EN: 0
; COMPUTE_PGM_RSRC2:TIDIG_COMP_CNT: 0
	.text
	.p2alignl 6, 3214868480
	.fill 48, 4, 3214868480
	.type	__hip_cuid_c6ee7fdb38979265,@object ; @__hip_cuid_c6ee7fdb38979265
	.section	.bss,"aw",@nobits
	.globl	__hip_cuid_c6ee7fdb38979265
__hip_cuid_c6ee7fdb38979265:
	.byte	0                               ; 0x0
	.size	__hip_cuid_c6ee7fdb38979265, 1

	.ident	"AMD clang version 19.0.0git (https://github.com/RadeonOpenCompute/llvm-project roc-6.4.0 25133 c7fe45cf4b819c5991fe208aaa96edf142730f1d)"
	.section	".note.GNU-stack","",@progbits
	.addrsig
	.addrsig_sym __hip_cuid_c6ee7fdb38979265
	.amdgpu_metadata
---
amdhsa.kernels:
  - .args:
      - .actual_access:  read_only
        .address_space:  global
        .offset:         0
        .size:           8
        .value_kind:     global_buffer
      - .actual_access:  read_only
        .address_space:  global
        .offset:         8
        .size:           8
        .value_kind:     global_buffer
      - .actual_access:  read_only
        .address_space:  global
        .offset:         16
        .size:           8
        .value_kind:     global_buffer
      - .actual_access:  read_only
        .address_space:  global
        .offset:         24
        .size:           8
        .value_kind:     global_buffer
      - .actual_access:  read_only
        .address_space:  global
        .offset:         32
        .size:           8
        .value_kind:     global_buffer
      - .offset:         40
        .size:           8
        .value_kind:     by_value
      - .address_space:  global
        .offset:         48
        .size:           8
        .value_kind:     global_buffer
      - .address_space:  global
        .offset:         56
        .size:           8
        .value_kind:     global_buffer
      - .address_space:  global
        .offset:         64
        .size:           8
        .value_kind:     global_buffer
      - .address_space:  global
        .offset:         72
        .size:           8
        .value_kind:     global_buffer
      - .offset:         80
        .size:           4
        .value_kind:     by_value
      - .address_space:  global
        .offset:         88
        .size:           8
        .value_kind:     global_buffer
      - .address_space:  global
        .offset:         96
        .size:           8
        .value_kind:     global_buffer
    .group_segment_fixed_size: 61200
    .kernarg_segment_align: 8
    .kernarg_segment_size: 104
    .language:       OpenCL C
    .language_version:
      - 2
      - 0
    .max_flat_workgroup_size: 255
    .name:           bluestein_single_back_len1275_dim1_dp_op_CI_CI
    .private_segment_fixed_size: 180
    .sgpr_count:     66
    .sgpr_spill_count: 0
    .symbol:         bluestein_single_back_len1275_dim1_dp_op_CI_CI.kd
    .uniform_work_group_size: 1
    .uses_dynamic_stack: false
    .vgpr_count:     256
    .vgpr_spill_count: 46
    .wavefront_size: 32
    .workgroup_processor_mode: 1
amdhsa.target:   amdgcn-amd-amdhsa--gfx1030
amdhsa.version:
  - 1
  - 2
...

	.end_amdgpu_metadata
